;; amdgpu-corpus repo=ROCm/Tensile kind=harvested arch=n/a opt=n/a

/******************************************/
/* Function Prefix                        */
/******************************************/



/******************************************/
/* Begin Kernel                           */
/******************************************/

// Component.Signature.SignatureDefault
.amdgcn_target "amdgcn-amd-amdhsa--gfx942"
.text
.protected Cijk_Ailk_Bljk_CB_MT32x80x64_MI16x16x4x1_SN_1LDSB1_APM1_AF0EM1_AF1EM1_AMAS0_ASGT_ASLT065_ASEM1_BL1_BS1_CLR0_DTVA0_DTVB0_ETB_EPS1_ELFLR0_EMLL0_FSSC10_FL0_GLVWA2_GLVWB2_GRCGA1_GRCGB1_GRVWn1_GSU1_GSUASB_GLS0_IU1_K1_LBSPPA0_LBSPPB512_LPA0_LPB4_LRVW2_MIAV1_MKFGSU256_NTA0_NTB0_NTC0_NTD0_NEPBS4_NLCA1_NLCB1_ONLL1_PK0_PGR2_PLR9_PKA0_SIA3_SS1_SU0_SUM0_SUS0_SPO0_SRVW0_SSO0_SVW1_TSGRA0_TSGRB0_TT1_80_TLDS1_UMLDSA0_UMLDSB1_USFGROn1_VAW1_VSn1_VW1_VWB1_VFLRP0_WSGRA0_WSGRB0_WG32_4_2_WGM1
.globl Cijk_Ailk_Bljk_CB_MT32x80x64_MI16x16x4x1_SN_1LDSB1_APM1_AF0EM1_AF1EM1_AMAS0_ASGT_ASLT065_ASEM1_BL1_BS1_CLR0_DTVA0_DTVB0_ETB_EPS1_ELFLR0_EMLL0_FSSC10_FL0_GLVWA2_GLVWB2_GRCGA1_GRCGB1_GRVWn1_GSU1_GSUASB_GLS0_IU1_K1_LBSPPA0_LBSPPB512_LPA0_LPB4_LRVW2_MIAV1_MKFGSU256_NTA0_NTB0_NTC0_NTD0_NEPBS4_NLCA1_NLCB1_ONLL1_PK0_PGR2_PLR9_PKA0_SIA3_SS1_SU0_SUM0_SUS0_SPO0_SRVW0_SSO0_SVW1_TSGRA0_TSGRB0_TT1_80_TLDS1_UMLDSA0_UMLDSB1_USFGROn1_VAW1_VSn1_VW1_VWB1_VFLRP0_WSGRA0_WSGRB0_WG32_4_2_WGM1
.p2align 8
.type Cijk_Ailk_Bljk_CB_MT32x80x64_MI16x16x4x1_SN_1LDSB1_APM1_AF0EM1_AF1EM1_AMAS0_ASGT_ASLT065_ASEM1_BL1_BS1_CLR0_DTVA0_DTVB0_ETB_EPS1_ELFLR0_EMLL0_FSSC10_FL0_GLVWA2_GLVWB2_GRCGA1_GRCGB1_GRVWn1_GSU1_GSUASB_GLS0_IU1_K1_LBSPPA0_LBSPPB512_LPA0_LPB4_LRVW2_MIAV1_MKFGSU256_NTA0_NTB0_NTC0_NTD0_NEPBS4_NLCA1_NLCB1_ONLL1_PK0_PGR2_PLR9_PKA0_SIA3_SS1_SU0_SUM0_SUS0_SPO0_SRVW0_SSO0_SVW1_TSGRA0_TSGRB0_TT1_80_TLDS1_UMLDSA0_UMLDSB1_USFGROn1_VAW1_VSn1_VW1_VWB1_VFLRP0_WSGRA0_WSGRB0_WG32_4_2_WGM1,@function
.section .rodata,#alloc
.p2align 6
.amdhsa_kernel Cijk_Ailk_Bljk_CB_MT32x80x64_MI16x16x4x1_SN_1LDSB1_APM1_AF0EM1_AF1EM1_AMAS0_ASGT_ASLT065_ASEM1_BL1_BS1_CLR0_DTVA0_DTVB0_ETB_EPS1_ELFLR0_EMLL0_FSSC10_FL0_GLVWA2_GLVWB2_GRCGA1_GRCGB1_GRVWn1_GSU1_GSUASB_GLS0_IU1_K1_LBSPPA0_LBSPPB512_LPA0_LPB4_LRVW2_MIAV1_MKFGSU256_NTA0_NTB0_NTC0_NTD0_NEPBS4_NLCA1_NLCB1_ONLL1_PK0_PGR2_PLR9_PKA0_SIA3_SS1_SU0_SUM0_SUS0_SPO0_SRVW0_SSO0_SVW1_TSGRA0_TSGRB0_TT1_80_TLDS1_UMLDSA0_UMLDSB1_USFGROn1_VAW1_VSn1_VW1_VWB1_VFLRP0_WSGRA0_WSGRB0_WG32_4_2_WGM1
  .amdhsa_user_sgpr_kernarg_segment_ptr 1
  .amdhsa_user_sgpr_kernarg_preload_offset 0
  .amdhsa_user_sgpr_kernarg_preload_length 0
  .amdhsa_user_sgpr_count 2
  .amdhsa_accum_offset 208 // accvgpr offset
  .amdhsa_next_free_vgpr 208 // vgprs
  .amdhsa_next_free_sgpr 69 // sgprs
  .amdhsa_group_segment_fixed_size 59904 // lds bytes
  .amdhsa_private_segment_fixed_size 0
  .amdhsa_system_sgpr_workgroup_id_x 1
  .amdhsa_system_sgpr_workgroup_id_y 1
  .amdhsa_system_sgpr_workgroup_id_z 1
  .amdhsa_system_vgpr_workitem_id 0
  .amdhsa_float_denorm_mode_32 3
  .amdhsa_float_denorm_mode_16_64 3
.end_amdhsa_kernel
.text

/******************************************/
/* Optimizations and Config:              */
/******************************************/
/* ThreadTile= 4 x 5 */
/* SubGroup= 8 x 16 */
/* VectorWidthA=1 */
/* VectorWidthB=1 */
/* GlobalLoadVectorWidthA=2, GlobalLoadVectorWidthB=2 */
/* DirectToLdsA=False */
/* DirectToLdsB=False */
/* UseSgprForGRO=1 */
.amdgpu_metadata
---
amdhsa.version:
  - 1
  - 1
amdhsa.target: amdgcn-amd-amdhsa--gfx942
amdhsa.kernels:
  - .name: Cijk_Ailk_Bljk_CB_MT32x80x64_MI16x16x4x1_SN_1LDSB1_APM1_AF0EM1_AF1EM1_AMAS0_ASGT_ASLT065_ASEM1_BL1_BS1_CLR0_DTVA0_DTVB0_ETB_EPS1_ELFLR0_EMLL0_FSSC10_FL0_GLVWA2_GLVWB2_GRCGA1_GRCGB1_GRVWn1_GSU1_GSUASB_GLS0_IU1_K1_LBSPPA0_LBSPPB512_LPA0_LPB4_LRVW2_MIAV1_MKFGSU256_NTA0_NTB0_NTC0_NTD0_NEPBS4_NLCA1_NLCB1_ONLL1_PK0_PGR2_PLR9_PKA0_SIA3_SS1_SU0_SUM0_SUS0_SPO0_SRVW0_SSO0_SVW1_TSGRA0_TSGRB0_TT1_80_TLDS1_UMLDSA0_UMLDSB1_USFGROn1_VAW1_VSn1_VW1_VWB1_VFLRP0_WSGRA0_WSGRB0_WG32_4_2_WGM1
    .symbol: 'Cijk_Ailk_Bljk_CB_MT32x80x64_MI16x16x4x1_SN_1LDSB1_APM1_AF0EM1_AF1EM1_AMAS0_ASGT_ASLT065_ASEM1_BL1_BS1_CLR0_DTVA0_DTVB0_ETB_EPS1_ELFLR0_EMLL0_FSSC10_FL0_GLVWA2_GLVWB2_GRCGA1_GRCGB1_GRVWn1_GSU1_GSUASB_GLS0_IU1_K1_LBSPPA0_LBSPPB512_LPA0_LPB4_LRVW2_MIAV1_MKFGSU256_NTA0_NTB0_NTC0_NTD0_NEPBS4_NLCA1_NLCB1_ONLL1_PK0_PGR2_PLR9_PKA0_SIA3_SS1_SU0_SUM0_SUS0_SPO0_SRVW0_SSO0_SVW1_TSGRA0_TSGRB0_TT1_80_TLDS1_UMLDSA0_UMLDSB1_USFGROn1_VAW1_VSn1_VW1_VWB1_VFLRP0_WSGRA0_WSGRB0_WG32_4_2_WGM1.kd'
    .language:                   OpenCL C
    .language_version:
      - 2
      - 0
    .args:
      - .name:            Tensor2dSizeA
        .size:            8
        .offset:          0
        .value_kind:      by_value
        .value_type:      u64
      - .name:            Tensor2dSizeB
        .size:            8
        .offset:          8
        .value_kind:      by_value
        .value_type:      u64
      - .name:            AddressD
        .size:            8
        .offset:          16
        .value_kind:      by_value
        .value_type:      u64
      - .name:            AddressC
        .size:            8
        .offset:          24
        .value_kind:      by_value
        .value_type:      u64
      - .name:            AddressA
        .size:            8
        .offset:          32
        .value_kind:      by_value
        .value_type:      u64
      - .name:            AddressB
        .size:            8
        .offset:          40
        .value_kind:      by_value
        .value_type:      u64
      - .name:            Alpha
        .size:            8
        .offset:          48
        .value_kind:      by_value
        .value_type:      u64
      - .name:            Beta
        .size:            8
        .offset:          56
        .value_kind:      by_value
        .value_type:      u64
      - .name:            StridesD
        .size:            8
        .offset:          64
        .value_kind:      by_value
        .value_type:      u64
      - .name:            StridesC
        .size:            8
        .offset:          72
        .value_kind:      by_value
        .value_type:      u64
      - .name:            StridesA
        .size:            8
        .offset:          80
        .value_kind:      by_value
        .value_type:      u64
      - .name:            StridesB
        .size:            8
        .offset:          88
        .value_kind:      by_value
        .value_type:      u64
      - .name:            SizesFree
        .size:            12
        .offset:          96
        .value_kind:      by_value
        .value_type:      u96
      - .name:            SizesSum
        .size:            4
        .offset:          108
        .value_kind:      by_value
        .value_type:      u32
      - .name:            NumWorkGroups0
        .size:            4
        .offset:          112
        .value_kind:      by_value
        .value_type:      u32
      - .name:            NumWorkGroups1
        .size:            4
        .offset:          116
        .value_kind:      by_value
        .value_type:      u32
    .group_segment_fixed_size:   59904
    .kernarg_segment_align:      8
    .kernarg_segment_size:       120
    .max_flat_workgroup_size:    256
    .private_segment_fixed_size: 0
    .sgpr_count:                 69
    .sgpr_spill_count:           0
    .vgpr_count:                 202
    .vgpr_spill_count:           0
    .wavefront_size:             64
...
.end_amdgpu_metadata
Cijk_Ailk_Bljk_CB_MT32x80x64_MI16x16x4x1_SN_1LDSB1_APM1_AF0EM1_AF1EM1_AMAS0_ASGT_ASLT065_ASEM1_BL1_BS1_CLR0_DTVA0_DTVB0_ETB_EPS1_ELFLR0_EMLL0_FSSC10_FL0_GLVWA2_GLVWB2_GRCGA1_GRCGB1_GRVWn1_GSU1_GSUASB_GLS0_IU1_K1_LBSPPA0_LBSPPB512_LPA0_LPB4_LRVW2_MIAV1_MKFGSU256_NTA0_NTB0_NTC0_NTD0_NEPBS4_NLCA1_NLCB1_ONLL1_PK0_PGR2_PLR9_PKA0_SIA3_SS1_SU0_SUM0_SUS0_SPO0_SRVW0_SSO0_SVW1_TSGRA0_TSGRB0_TT1_80_TLDS1_UMLDSA0_UMLDSB1_USFGROn1_VAW1_VSn1_VW1_VWB1_VFLRP0_WSGRA0_WSGRB0_WG32_4_2_WGM1:

/******************************************/
/* Asm syntax workarounds                 */
/******************************************/
.macro _v_add_co_u32 dst:req, cc:req, src0:req, src1:req, dpp=
   v_add_co_u32 \dst, \cc, \src0, \src1 \dpp
.endm

.macro _v_add_u32 dst:req, src0:req, src1:req, dpp=
   v_add_u32 \dst, \src0, \src1 \dpp
.endm

.macro _v_add_i32 dst:req, src0:req, src1:req, dpp=
   v_add_i32 \dst, \src0, \src1 \dpp
.endm

.macro _v_addc_co_u32 dst:req, ccOut:req, src0:req, ccIn:req, src1:req, dpp=
   v_addc_co_u32 \dst, \ccOut, \src0, \ccIn, \src1 \dpp
.endm

.macro _v_sub_co_u32 dst:req, cc:req, src0:req, src1:req, dpp=
   v_sub_co_u32 \dst, \cc, \src0, \src1 \dpp
.endm

.macro _v_sub_u32 dst:req, src0:req, src1:req, dpp=
   v_sub_u32 \dst, \src0, \src1 \dpp
.endm

.macro _v_sub_i32 dst:req, src0:req, src1:req, dpp=
   v_sub_i32 \dst, \src0, \src1 \dpp
.endm

.macro _v_add_lshl_u32 dst:req, src0:req, src1:req, shiftCnt:req
    v_add_lshl_u32 \dst, \src0, \src1, \shiftCnt
.endm

.macro _v_lshl_add_u32 dst:req, src0:req, src1:req, shiftCnt:req
    v_lshl_add_u32 \dst, \src0, \src1, \shiftCnt
.endm

.macro _v_lshl_or_b32 dst:req, src0:req, shiftCnt:req, src1:req
    v_lshl_or_b32 \dst, \src0, \shiftCnt, \src1
.endm

.macro _v_dot2acc_f32_f16 dst, src0, src1
v_dot2c_f32_f16 \dst, \src0, \src1
.endm

.macro _v_cmpx_lt_i16 dst, src0, src1=
   v_cmpx_lt_i16 \dst, \src0, \src1 
.endm

.macro _v_cmpx_lt_i32 dst, src0, src1=
   v_cmpx_lt_i32 \dst, \src0, \src1 
.endm

.macro _v_cmpx_lt_i64 dst, src0, src1=
   v_cmpx_lt_i64 \dst, \src0, \src1 
.endm

.macro _v_cmpx_lt_u16 dst, src0, src1=
   v_cmpx_lt_u16 \dst, \src0, \src1 
.endm

.macro _v_cmpx_lt_u32 dst, src0, src1=
   v_cmpx_lt_u32 \dst, \src0, \src1 
.endm

.macro _v_cmpx_lt_u64 dst, src0, src1=
   v_cmpx_lt_u64 \dst, \src0, \src1 
.endm

.macro _v_cmpx_eq_i16 dst, src0, src1=
   v_cmpx_eq_i16 \dst, \src0, \src1 
.endm

.macro _v_cmpx_eq_i32 dst, src0, src1=
   v_cmpx_eq_i32 \dst, \src0, \src1 
.endm

.macro _v_cmpx_eq_i64 dst, src0, src1=
   v_cmpx_eq_i64 \dst, \src0, \src1 
.endm

.macro _v_cmpx_eq_u16 dst, src0, src1=
   v_cmpx_eq_u16 \dst, \src0, \src1 
.endm

.macro _v_cmpx_eq_u32 dst, src0, src1=
   v_cmpx_eq_u32 \dst, \src0, \src1 
.endm

.macro _v_cmpx_eq_u64 dst, src0, src1=
   v_cmpx_eq_u64 \dst, \src0, \src1 
.endm

.macro _v_cmpx_le_i16 dst, src0, src1=
   v_cmpx_le_i16 \dst, \src0, \src1 
.endm

.macro _v_cmpx_le_i32 dst, src0, src1=
   v_cmpx_le_i32 \dst, \src0, \src1 
.endm

.macro _v_cmpx_le_i64 dst, src0, src1=
   v_cmpx_le_i64 \dst, \src0, \src1 
.endm

.macro _v_cmpx_le_u16 dst, src0, src1=
   v_cmpx_le_u16 \dst, \src0, \src1 
.endm

.macro _v_cmpx_le_u32 dst, src0, src1=
   v_cmpx_le_u32 \dst, \src0, \src1 
.endm

.macro _v_cmpx_le_u64 dst, src0, src1=
   v_cmpx_le_u64 \dst, \src0, \src1 
.endm

.macro _v_cmpx_gt_i16 dst, src0, src1=
   v_cmpx_gt_i16 \dst, \src0, \src1 
.endm

.macro _v_cmpx_gt_i32 dst, src0, src1=
   v_cmpx_gt_i32 \dst, \src0, \src1 
.endm

.macro _v_cmpx_gt_i64 dst, src0, src1=
   v_cmpx_gt_i64 \dst, \src0, \src1 
.endm

.macro _v_cmpx_gt_u16 dst, src0, src1=
   v_cmpx_gt_u16 \dst, \src0, \src1 
.endm

.macro _v_cmpx_gt_u32 dst, src0, src1=
   v_cmpx_gt_u32 \dst, \src0, \src1 
.endm

.macro _v_cmpx_gt_u64 dst, src0, src1=
   v_cmpx_gt_u64 \dst, \src0, \src1 
.endm

.macro _v_cmpx_ne_i16 dst, src0, src1=
   v_cmpx_ne_i16 \dst, \src0, \src1 
.endm

.macro _v_cmpx_ne_i32 dst, src0, src1=
   v_cmpx_ne_i32 \dst, \src0, \src1 
.endm

.macro _v_cmpx_ne_i64 dst, src0, src1=
   v_cmpx_ne_i64 \dst, \src0, \src1 
.endm

.macro _v_cmpx_ne_u16 dst, src0, src1=
   v_cmpx_ne_u16 \dst, \src0, \src1 
.endm

.macro _v_cmpx_ne_u32 dst, src0, src1=
   v_cmpx_ne_u32 \dst, \src0, \src1 
.endm

.macro _v_cmpx_ne_u64 dst, src0, src1=
   v_cmpx_ne_u64 \dst, \src0, \src1 
.endm

.macro _v_cmpx_lg_i16 dst, src0, src1=
   v_cmpx_lg_i16 \dst, \src0, \src1 
.endm

.macro _v_cmpx_lg_i32 dst, src0, src1=
   v_cmpx_lg_i32 \dst, \src0, \src1 
.endm

.macro _v_cmpx_lg_i64 dst, src0, src1=
   v_cmpx_lg_i64 \dst, \src0, \src1 
.endm

.macro _v_cmpx_lg_u16 dst, src0, src1=
   v_cmpx_lg_u16 \dst, \src0, \src1 
.endm

.macro _v_cmpx_lg_u32 dst, src0, src1=
   v_cmpx_lg_u32 \dst, \src0, \src1 
.endm

.macro _v_cmpx_lg_u64 dst, src0, src1=
   v_cmpx_lg_u64 \dst, \src0, \src1 
.endm

.macro _v_cmpx_ge_i16 dst, src0, src1=
   v_cmpx_ge_i16 \dst, \src0, \src1 
.endm

.macro _v_cmpx_ge_i32 dst, src0, src1=
   v_cmpx_ge_i32 \dst, \src0, \src1 
.endm

.macro _v_cmpx_ge_i64 dst, src0, src1=
   v_cmpx_ge_i64 \dst, \src0, \src1 
.endm

.macro _v_cmpx_ge_u16 dst, src0, src1=
   v_cmpx_ge_u16 \dst, \src0, \src1 
.endm

.macro _v_cmpx_ge_u32 dst, src0, src1=
   v_cmpx_ge_u32 \dst, \src0, \src1 
.endm

.macro _v_cmpx_ge_u64 dst, src0, src1=
   v_cmpx_ge_u64 \dst, \src0, \src1 
.endm

.macro _v_cmpx_o_i16 dst, src0, src1=
   v_cmpx_o_i16 \dst, \src0, \src1 
.endm

.macro _v_cmpx_o_i32 dst, src0, src1=
   v_cmpx_o_i32 \dst, \src0, \src1 
.endm

.macro _v_cmpx_o_i64 dst, src0, src1=
   v_cmpx_o_i64 \dst, \src0, \src1 
.endm

.macro _v_cmpx_o_u16 dst, src0, src1=
   v_cmpx_o_u16 \dst, \src0, \src1 
.endm

.macro _v_cmpx_o_u32 dst, src0, src1=
   v_cmpx_o_u32 \dst, \src0, \src1 
.endm

.macro _v_cmpx_o_u64 dst, src0, src1=
   v_cmpx_o_u64 \dst, \src0, \src1 
.endm

.macro _v_cmpx_u_i16 dst, src0, src1=
   v_cmpx_u_i16 \dst, \src0, \src1 
.endm

.macro _v_cmpx_u_i32 dst, src0, src1=
   v_cmpx_u_i32 \dst, \src0, \src1 
.endm

.macro _v_cmpx_u_i64 dst, src0, src1=
   v_cmpx_u_i64 \dst, \src0, \src1 
.endm

.macro _v_cmpx_u_u16 dst, src0, src1=
   v_cmpx_u_u16 \dst, \src0, \src1 
.endm

.macro _v_cmpx_u_u32 dst, src0, src1=
   v_cmpx_u_u32 \dst, \src0, \src1 
.endm

.macro _v_cmpx_u_u64 dst, src0, src1=
   v_cmpx_u_u64 \dst, \src0, \src1 
.endm
.macro _v_mac_f32 c:req, a:req, b:req
    v_fmac_f32 \c, \a, \b
.endmacro

/* scale global load macros */
.macro _s_load_b32 dst base offset
    s_load_dword \dst \base \offset
.endm

.macro _s_load_b64 dst base offset
    s_load_dwordx2 \dst \base \offset
.endm

.macro _s_load_b128 dst base offset
    s_load_dwordx4 \dst \base \offset
.endm

.macro _s_load_b256 dst base offset
    s_load_dwordx8 \dst \base \offset
.endm

.macro _s_load_b512 dst base offset
    s_load_dwordx16 \dst \base \offset
.endm


/* ds operation macros */
.macro _ds_load_u8 dst src offset
    ds_read_u8 \dst \src \offset
.endm

.macro _ds_load_u8_d16_hi dst src offset
    ds_read_u8_d16_hi \dst \src \offset
.endm

.macro _ds_load_u16 dst src offset
    ds_read_u16 \dst \src \offset
.endm

.macro _ds_load_u16_d16_hi dst src offset
    ds_read_u16_d16_hi \dst \src \offset
.endm

.macro _ds_load_b32 dst src offset
    ds_read_b32 \dst \src \offset
.endm

.macro _ds_load_b64 dst src offset
    ds_read_b64 \dst \src \offset
.endm

.macro _ds_load_b128 dst src offset
    ds_read_b128 \dst \src \offset
.endm

.macro _ds_store_b8 dst src offset
    ds_write_b8 \dst \src \offset
.endm

.macro _ds_store_b8_d16_hi dst src offset
    ds_write_b8_d16_hi \dst \src \offset
.endm

.macro _ds_store_b16 dst src offset
    ds_write_b16 \dst \src \offset
.endm

.macro _ds_store_b16_d16_hi dst src offset
    ds_write_b16_d16_hi \dst \src \offset
.endm

.macro _ds_store_b32 dst src offset
    ds_write_b32 \dst \src \offset
.endm

.macro _ds_store_b64 dst src offset
    ds_write_b64 \dst \src \offset
.endm

.macro _ds_store_b128 dst src offset
    ds_write_b128 \dst \src \offset
.endm

.macro _ds_load2_b32 dst src offset1 offset2
    ds_read2_b32 \dst \src \offset1 \offset2
.endm

.macro _ds_load2_b64 dst src offset1 offset2
    ds_read2_b64 \dst \src \offset1 \offset2
.endm

.macro _ds_store2_b32 dst src offset1 offset2
    ds_write2_b32 \dst \src \offset1 \offset2
.endm

.macro _ds_store2_b64 dst src offset1 offset2
    ds_write2_b64 \dst \src \offset1 \offset2
.endm


/* buffer memory operation macros */
.macro _buffer_load_b32 dst voffset base soffset offen ioffset md0 md1 md2
    buffer_load_dword \dst \voffset \base \soffset \offen \ioffset \md0 \md1 \md2
.endm

.macro _buffer_load_b64 dst voffset base soffset offen ioffset md0 md1 md2
    buffer_load_dwordx2 \dst \voffset \base \soffset \offen \ioffset \md0 \md1 \md2
.endm

.macro _buffer_load_b96 dst voffset base soffset offen ioffset md0 md1 md2
    buffer_load_dwordx3 \dst \voffset \base \soffset \offen \ioffset \md0 \md1 \md2
.endm

.macro _buffer_load_b128 dst voffset base soffset offen ioffset md0 md1 md2
    buffer_load_dwordx4 \dst \voffset \base \soffset \offen \ioffset \md0 \md1 \md2
.endm

.macro _buffer_load_d16_b16 dst voffset base soffset offen ioffset md0 md1 md2
    buffer_load_short_d16 \dst \voffset \base \soffset \offen \ioffset \md0 \md1 \md2
.endm

.macro _buffer_load_d16_hi_b16 dst voffset base soffset offen ioffset md0 md1 md2
    buffer_load_short_d16_hi \dst \voffset \base \soffset \offen \ioffset \md0 \md1 \md2
.endm

.macro _buffer_load_d16_u8 dst voffset base soffset offen ioffset md0 md1 md2
    buffer_load_ubyte_d16 \dst \voffset \base \soffset \offen \ioffset \md0 \md1 \md2
.endm

.macro _buffer_load_d16_hi_u8 dst voffset base soffset offen ioffset md0 md1 md2
    buffer_load_ubyte_d16_hi \dst \voffset \base \soffset \offen \ioffset \md0 \md1 \md2
.endm

.macro _buffer_load_u16 dst voffset base soffset offen ioffset md0 md1 md2
    buffer_load_ushort \dst \voffset \base \soffset \offen \ioffset \md0 \md1 \md2
.endm

.macro _buffer_load_b32_dtl voffset base soffset offen ioffset md0 md1 md2
    buffer_load_dword \voffset \base \soffset \offen \ioffset \md0 \md1 \md2
.endm

.macro _buffer_load_b64_dtl voffset base soffset offen ioffset md0 md1 md2
    buffer_load_dwordx2 \voffset \base \soffset \offen \ioffset \md0 \md1 \md2
.endm

.macro _buffer_load_b128_dtl voffset base soffset offen ioffset md0 md1 md2
    buffer_load_dwordx4 \voffset \base \soffset \offen \ioffset \md0 \md1 \md2
.endm

.macro _buffer_load_u16_dtl voffset base soffset offen ioffset md0 md1 md2
    buffer_load_ushort \voffset \base \soffset \offen \ioffset \md0 \md1 \md2
.endm

.macro _buffer_store_b32 src voffset base soffset offen ioffset md0 md1 md2
    buffer_store_dword \src \voffset \base \soffset \offen \ioffset \md0 \md1 \md2
.endm

.macro _buffer_store_b64 src voffset base soffset offen ioffset md0 md1 md2
    buffer_store_dwordx2 \src \voffset \base \soffset \offen \ioffset \md0 \md1 \md2
.endm

.macro _buffer_store_b96 src voffset base soffset offen ioffset md0 md1 md2
    buffer_store_dwordx3 \src \voffset \base \soffset \offen \ioffset \md0 \md1 \md2
.endm

.macro _buffer_store_b128 src voffset base soffset offen ioffset md0 md1 md2
    buffer_store_dwordx4 \src \voffset \base \soffset \offen \ioffset \md0 \md1 \md2
.endm

.macro _buffer_store_b16 src voffset base soffset offen ioffset md0 md1 md2
    buffer_store_short \src \voffset \base \soffset \offen \ioffset \md0 \md1 \md2
.endm

.macro _buffer_store_d16_hi_b16 src voffset base soffset offen ioffset md0 md1 md2
    buffer_store_short_d16_hi \src \voffset \base \soffset \offen \ioffset \md0 \md1 \md2
.endm

.macro _buffer_store_b8 src voffset base soffset offen ioffset md0 md1 md2
    buffer_store_byte \src \voffset \base \soffset \offen \ioffset \md0 \md1 \md2
.endm

.macro _buffer_store_d16_hi_b8 src voffset base soffset offen ioffset md0 md1 md2
    buffer_store_byte_d16_hi \src \voffset \base \soffset \offen \ioffset \md0 \md1 \md2
.endm

.macro _buffer_atomic_cmpswap_b32 dst voffset base soffset offen ioffset md0 md1 md2
    buffer_atomic_cmpswap \dst \voffset \base \soffset \offen \ioffset \md0 \md1 \md2
.endm

.macro _buffer_atomic_cmpswap_b64 dst voffset base soffset offen ioffset md0 md1 md2
    buffer_atomic_cmpswap_x2 \dst \voffset \base \soffset \offen \ioffset \md0 \md1 \md2
.endm


/* buffer memory operation macros */
.macro _global_load_b32 dst base src ioffset md0 md1 md2
    global_load_dword \dst \base \src \ioffset \md0 \md1 \md2
.endm

.macro _global_load_b64 dst base src ioffset md0 md1 md2
    global_load_dwordx2 \dst \base \src \ioffset \md0 \md1 \md2
.endm

.macro _global_load_b96 dst base src ioffset md0 md1 md2
    global_load_dwordx3 \dst \base \src \ioffset \md0 \md1 \md2
.endm

.macro _global_load_b128 dst base src ioffset md0 md1 md2
    global_load_dwordx4 \dst \base \src \ioffset \md0 \md1 \md2
.endm

.macro _global_load_d16_b16 dst base src ioffset md0 md1 md2
    global_load_short_d16 \dst \base \src \ioffset \md0 \md1 \md2
.endm

.macro _global_load_d16_hi_b16 dst base src ioffset md0 md1 md2
    global_load_short_d16_hi \dst \base \src \ioffset \md0 \md1 \md2
.endm

.macro _global_load_d16_u8 dst base src ioffset md0 md1 md2
    global_load_ubyte_d16 \dst \base \src \ioffset \md0 \md1 \md2
.endm

.macro _global_load_d16_hi_u8 dst base src ioffset md0 md1 md2
    global_load_ubyte_d16_hi \dst \base \src \ioffset \md0 \md1 \md2
.endm

.macro _global_load_u16 dst base src ioffset md0 md1 md2
    global_load_ushort \dst \base \src \ioffset \md0 \md1 \md2
.endm

.macro _global_store_b32 base src src2 md0 md1 md2
    global_store_dword \base \src \src2 \md0 \md1 \md2
.endm

.macro _global_store_b64 base src src2 md0 md1 md2
    global_store_dwordx2 \base \src \src2 \md0 \md1 \md2
.endm

.macro _global_store_b96 base src src2 md0 md1 md2
    global_store_dwordx3 \base \src \src2 \md0 \md1 \md2
.endm

.macro _global_store_b128 base src src2 md0 md1 md2
    global_store_dwordx4 \base \src \src2 \md0 \md1 \md2
.endm

.macro _global_store_d16_b16 base src src2 md0 md1 md2
    global_store_short \base \src \src2 \md0 \md1 \md2
.endm

.macro _global_store_d16_hi_b16 base src src2 md0 md1 md2
    global_store_short_d16_hi \base \src \src2 \md0 \md1 \md2
.endm

.macro _global_store_d16_u8 base src src2 md0 md1 md2
    global_store_ubyte_d16 \base \src \src2 \md0 \md1 \md2
.endm

.macro _global_store_d16_hi_u8 base src src2 md0 md1 md2
    global_store_ubyte_d16_hi \base \src \src2 \md0 \md1 \md2
.endm

.macro _global_store_u16 base src src2 md0 md1 md2
    global_store_ushort \base \src \src2 \md0 \md1 \md2
.endm

.macro _global_atomic_cmpswap_b32 tmp base data src ioffset md
    global_atomic_cmpswap \tmp \base \data \src \ioffset \md
.endm

.macro _global_atomic_cmpswap_b64 tmp base data src ioffset md
    global_atomic_cmpswap_x2 \tmp \base \data \src \ioffset \md
.endm


/******************************************/
/* Magic div and mod functions            */
/******************************************/
.macro V_MAGIC_DIV dstIdx:req, dividend:req, magicNumber:req, magicShift:req, magicA:req
    v_mul_hi_u32 v[\dstIdx+1], \dividend, \magicNumber
    v_mul_lo_u32 v[\dstIdx+0], \dividend, \magicA
    _v_add_u32 v[\dstIdx+0], v[\dstIdx+0], v[\dstIdx+1]
    v_lshrrev_b32 v[\dstIdx+0], \magicShift, v[\dstIdx+0]
.endm

/******************************************/
/* VGPR Assignments                       */
/******************************************/
/* ValuC range: [0-40),  */
.set vgprValuC, 0
/* ValuA/B   Xn=PLR buffer idx,  In=InnerUnroll idx */
.set vgprValuA_X0_I0, 40
.set vgprValuA_X1_I0, 42
.set vgprValuA_X2_I0, 44
.set vgprValuA_X3_I0, 46
.set vgprValuA_X4_I0, 48
.set vgprValuA_X5_I0, 50
.set vgprValuA_X6_I0, 52
.set vgprValuA_X7_I0, 54
.set vgprG2LA, 140
.set vgprValuB_X0_I0, 56
.set vgprValuB_X1_I0, 66
.set vgprValuB_X2_I0, 76
.set vgprValuB_X3_I0, 86
.set vgprValuB_X4_I0, 96
.set vgprValuB_X5_I0, 106
.set vgprValuB_X6_I0, 116
.set vgprValuB_X7_I0, 126
.set vgprG2LB, 156
.set vgprLocalWriteAddrA, 136
.set vgprLocalWriteAddrB, 137
.set vgprGlobalReadOffsetA, 138
.set vgprGlobalReadOffsetB, 139
.set vgprLocalReadAddrA, 196
.set vgprLocalReadAddrB, 197
.set vgprSerial, 198
/* Num VGPR=202 */
/* Num AccVGPR=0 */

/******************************************/
/* SGPR Assignments                       */
/******************************************/
.set sgprKernArgAddress, 0 // (2)
.set sgprWorkGroup0, 2 // (1)
.set sgprWorkGroup1, 3 // (1)
.set sgprWorkGroup2, 4 // (1)
.set sgprLoopCounterL, 5 // (1)
.set sgprOrigLoopCounter, 6 // (1)
.set sgprSrdA, 8 // (4)
.set sgprSrdB, 12 // (4)
.set sgprSrdD, 16 // (4)
.set sgprSrdC, 20 // (4)
.set sgprTensor2dSizeA, 24 // (2)
.set sgprTensor2dSizeB, 26 // (2)
.set sgprAddressD, 28 // (2)
.set sgprAddressC, 30 // (2)
.set sgprAddressA, 32 // (2)
.set sgprAddressB, 34 // (2)
.set sgprAlpha, 36 // (2)
.set sgprBeta, 38 // (2)
.set sgprStridesD, 40 // (2)
.set sgprStridesC, 42 // (2)
.set sgprStridesA, 44 // (2)
.set sgprStridesB, 46 // (2)
.set sgprSizesFree, 48 // (3)
.set sgprSizesSum, 51 // (1)
.set sgprNumWorkGroups0, 52 // (1)
.set sgprNumWorkGroups1, 53 // (1)
.set sgprShadowLimitA, 0 // (2)
.set sgprShadowLimitB, 28 // (2)
.set sgprGlobalReadIncsA, 7 // (1)
.set sgprGlobalReadIncsB, 30 // (1)
.set sgprScalarGlobalReadOffsetA, 31 // (3)
.set sgprScalarGlobalReadOffsetB, 56 // (9)
/* max SGPR=69 */

/* Size Assignments */
.set sgprSizeI, sgprSizesFree+0
.set sgprSizeJ, sgprSizesFree+1
.set sgprSizeK, sgprSizesFree+2
.set sgprSizeL, sgprSizesSum+0

/* Stride Assignments */
.set constStrideD0I, 1
.set sgprStrideD1J, sgprStridesD+0
.set sgprStrideDK, sgprStridesD+1
.set constStrideC0I, 1
.set sgprStrideC1J, sgprStridesC+0
.set sgprStrideCK, sgprStridesC+1
.set constStrideA0I, 1
.set sgprStrideAL, sgprStridesA+0
.set sgprStrideAK, sgprStridesA+1
.set constStrideBL, 1
.set sgprStrideB1J, sgprStridesB+0
.set sgprStrideBK, sgprStridesB+1

.set MT0, 32
.set MT1, 80
.set DepthU, 64
.set GSU, 1
.set BpeA, 8
.set BpeALog2, 3
.set BpeB, 8
.set BpeBLog2, 3
/* Number of elements to shift-left SRD */
.set SrdShiftLeftA, 2
.set SrdShiftLeftB, 2
/* 2GB limit - set offsets to -1 to exceed this and clamp */
.set BufferLimitA, 0xffffffff
.set BufferLimitB, 0xffffffff
.set BufferOOB, 0xfffff000

/******************************************/
/* Bits 127:96 of SRD.                    */
/* hex: 0x00020000                        */
/* dst_sel_x (3b): 0                      */
/* dst_sel_y (3b): 0                      */
/* dst_sel_z (3b): 0                      */
/* dst_sel_w (3b): 0                      */
/* num_format (3b): 0                     */
/* data_format (4b): 4                    */
/* user_vm_enable (1b): 0                 */
/* user_vm_mode (1b): 0                   */
/* index_stride (2b): 0                   */
/* add_tid_enable (1b): 0                 */
/* _unusedA (3b): 0                       */
/* nv (1b): 0                             */
/* _unusedB (2b): 0                       */
/* type (2b): 0                           */
/******************************************/
.set Srd127_96, 0x00020000

/* Global Offset A */
.macro GLOBAL_OFFSET_A vgprAddr:req vgprOffset0I:req vgprOffsetL:req vgprTmp:req
v_mul_lo_u32 v[\vgprTmp+0], s[sgprStrideAL], v[\vgprOffsetL] // mul d1 lower
_v_add_co_u32 v[\vgprAddr+0], vcc, v[\vgprOffset0I], v[\vgprTmp+0] // accumulate K lower
_v_add_u32 v[\vgprAddr+0], 0x2, v[\vgprAddr+0]     // add prepad for pointer shift
v_lshlrev_b32 v[\vgprAddr+0], 0x3, v[\vgprAddr+0]  // offset *= bytes/element
.endm

/* Global Offset B */
.macro GLOBAL_OFFSET_B vgprAddr:req vgprOffsetL:req vgprOffset1J:req vgprTmp:req
v_mul_lo_u32 v[\vgprTmp+0], s[sgprStrideB1J], v[\vgprOffset1J] // mul d1 lower
_v_add_co_u32 v[\vgprAddr+0], vcc, v[\vgprOffsetL], v[\vgprTmp+0] // accumulate K lower
_v_add_u32 v[\vgprAddr+0], 0x2, v[\vgprAddr+0]     // add prepad for pointer shift
v_lshlrev_b32 v[\vgprAddr+0], 0x3, v[\vgprAddr+0]  // offset *= bytes/element
.endm

/******************************************/
/* Dynamic Scalar Divide: vQuotient=vDividend/vDivisor; vRemainder=vDividend%vDivisor; */
/******************************************/
.macro DYNAMIC_VECTOR_DIVIDE vQuotient vRemainder vDividend vDivisor vTmp0 vTmp1 sTmp
v_cvt_f32_u32 v[\vQuotient], v[\vDivisor]          // 
v_rcp_f32 v[\vQuotient], v[\vQuotient]             // 
v_mul_f32 v[\vQuotient], 0x4f800000, v[\vQuotient] // 
v_cvt_u32_f32 v[\vQuotient], v[\vQuotient]         // 
v_mul_lo_u32 v[\vRemainder], v[\vDivisor], v[\vQuotient] // 
v_mul_hi_u32 v[\vTmp0], v[\vDivisor], v[\vQuotient] // 
_v_sub_co_u32 v[\vTmp1], vcc, 0x0, v[\vRemainder]  // 
v_cmp_ne_i32 s[\sTmp:\sTmp+1], 0x0, v[\vTmp0]      // 
v_cndmask_b32 v[\vRemainder], v[\vTmp1], v[\vRemainder], s[\sTmp:\sTmp+1] // 
v_mul_hi_u32 v[\vRemainder], v[\vRemainder], v[\vQuotient] // 
_v_sub_co_u32 v[\vTmp0], vcc, v[\vQuotient], v[\vRemainder] // 
_v_add_co_u32 v[\vQuotient], vcc, v[\vQuotient], v[\vRemainder] // 
v_cndmask_b32 v[\vQuotient], v[\vQuotient], v[\vTmp0], s[\sTmp:\sTmp+1] // 
v_mul_hi_u32 v[\vQuotient], v[\vQuotient], v[\vDividend] // 
v_mul_lo_u32 v[\vRemainder], v[\vQuotient], v[\vDivisor] // 
_v_sub_co_u32 v[\vTmp0], vcc, v[\vDividend], v[\vRemainder] // 
v_cmp_ge_u32 s[\sTmp:\sTmp+1], v[\vDividend], v[\vRemainder] // 
_v_add_co_u32 v[\vRemainder], vcc, 0x1, v[\vQuotient] // 
_v_add_co_u32 v[\vTmp1], vcc, -1, v[\vQuotient]    // 
v_cmp_le_u32 vcc, v[\vDivisor], v[\vTmp0]          // 
s_and_b64 vcc, s[\sTmp:\sTmp+1], vcc               // 
v_cndmask_b32 v[\vQuotient], v[\vQuotient], v[\vRemainder], vcc // 
v_cndmask_b32 v[\vQuotient], v[\vTmp1], v[\vQuotient], s[\sTmp:\sTmp+1] // 
v_cmp_ne_i32 vcc, 0x0, v[\vDivisor]                // 
v_cndmask_b32 v[\vQuotient], -1, v[\vQuotient], vcc // final result
v_mul_lo_u32 v[\vRemainder], v[\vQuotient], v[\vDivisor] // 
_v_sub_co_u32 v[\vRemainder], vcc, v[\vDividend], v[\vRemainder] // final result
.endm


	;; [unrolled: 1-line block ×3, first 2 shown]
/******************************************/
/* Allocate Resources                     */
/******************************************/

Cijk_Ailk_Bljk_CB_MT32x80x64_MI16x16x4x1_SN_1LDSB1_APM1_AF0EM1_AF1EM1_AMAS0_ASGT_ASLT065_ASEM1_BL1_BS1_CLR0_DTVA0_DTVB0_ETB_EPS1_ELFLR0_EMLL0_FSSC10_FL0_GLVWA2_GLVWB2_GRCGA1_GRCGB1_GRVWn1_GSU1_GSUASB_GLS0_IU1_K1_LBSPPA0_LBSPPB512_LPA0_LPB4_LRVW2_MIAV1_MKFGSU256_NTA0_NTB0_NTC0_NTD0_NEPBS4_NLCA1_NLCB1_ONLL1_PK0_PGR2_PLR9_PKA0_SIA3_SS1_SU0_SUM0_SUS0_SPO0_SRVW0_SSO0_SVW1_TSGRA0_TSGRB0_TT1_80_TLDS1_UMLDSA0_UMLDSB1_USFGROn1_VAW1_VSn1_VW1_VWB1_VFLRP0_WSGRA0_WSGRB0_WG32_4_2_WGM1_preloaded: // Kernel start when preloading

/* Load Kernel Args */
_s_load_b512 s[24:39], s[sgprKernArgAddress:sgprKernArgAddress+1], 0x0 // 
_s_load_b256 s[40:47], s[sgprKernArgAddress:sgprKernArgAddress+1], 0x40 // 
_s_load_b128 s[48:51], s[sgprKernArgAddress:sgprKernArgAddress+1], 0x60 // 
_s_load_b64 s[52:53], s[sgprKernArgAddress:sgprKernArgAddress+1], 0x70 // 
s_mov_b32 m0, 0xea00                               // LDS clamp at 59904 bytes
v_mov_b32 v[vgprSerial], v0                        // thread serial id

/******************************************/
/* Local Read Addresses                   */
/******************************************/


/* local read addresses: tile assignments a/b */

/*lr0I*/
v_and_b32 v1, 63, v[vgprSerial]                    // 0. thread id in wave: wtid = tid % wavelength(64)
v_and_b32 v0, 15, v1                               // 1. N offset: nIdx = wtid % MI_N(16)
                                                   // 1. N offset: nOffset = nIdx * nStride(1) (multiplier is 1, do nothing)
                                                   // 2. block offset: bnIdx = bnIdx % num1DBlocks(1) is 0. do nothing
                                                   // 4. apply VectorWidth: bnOffset = bnOffset * vw(1) (multiplier is 1, do nothing)
v_lshrrev_b32 v1, 4, v1                            // 5. K offset: kIdx = wtid / (MIN(16) * MIBB(1))
v_lshlrev_b32 v1, 0x6, v1                          // 5. K offset: lrKOffset = kIdx * mStride(64)
_v_add_u32 v0, v1, v0                              // 6. offset in wave: lrOffset = bnOffset + lrKOffset
v_lshrrev_b32 v2, 6, v[vgprSerial]                 // 7. wave offset in N dimen: wtid = tid / dividedForWaveId(64)
v_and_b32 v1, 1, v2                                // 7. wave offset in M dimen: wtid0 = wtid / num1DWaves(2)
v_lshlrev_b32 v1, 0x4, v1                          // 7. wave offset in M dimen: wOffset = wtid0 * W0Stride(16)
_v_add_u32 v0, v1, v0                              // 8. final local read offset: flrOffset = lrOffset + WOffset
v_lshrrev_b32 v1, 7, v[vgprSerial]                 // LSU offset: sgid = Serial / subGroup(128)
v_lshlrev_b32 v1, 0x8, v1                          // LSU offset: lsuOffset = sgid * kInterval(4) *  strideK(64)
_v_add_u32 v0, v1, v0                              // LSU offset: lrOffset += lsuOffset
/*lr1J*/
v_and_b32 v2, 63, v[vgprSerial]                    // 0. thread id in wave: wtid = tid % wavelength(64)
v_and_b32 v1, 15, v2                               // 1. N offset: nIdx = wtid % MI_N(16)
v_lshlrev_b32 v1, 0x6, v1                          // 1. N offset: nOffset = nIdx * nStride(64)
                                                   // 2. block offset: bnIdx = bnIdx % num1DBlocks(1) is 0. do nothing
                                                   // 4. apply VectorWidth: bnOffset = bnOffset * vw(1) (multiplier is 1, do nothing)
v_lshrrev_b32 v2, 4, v2                            // 5. K offset: kIdx = wtid / (MIN(16) * MIBB(1))
v_lshlrev_b32 v2, 0x1, v2                          // 5. K offset: lrKOffset = kIdx * mStride(2)
_v_add_u32 v1, v2, v1                              // 6. offset in wave: lrOffset = bnOffset + lrKOffset
v_lshrrev_b32 v2, 7, v[vgprSerial]                 // LSU offset: sgid = Serial / subGroup(128)
v_lshlrev_b32 v2, 0x3, v2                          // LSU offset: lsuOffset = sgid * kInterval(4) *  strideK(2)
_v_add_u32 v1, v2, v1                              // LSU offset: lrOffset += lsuOffset


/* local read addresses: final offsets a */

v_lshlrev_b32 v[vgprLocalReadAddrA], 0x3, v0       // Final Offset: offset = (lro0)*bpe


/* local read addresses: final offsets b */

v_lshlrev_b32 v[vgprLocalReadAddrB], 0x3, v1       // Final Offset: offset = (lro1)*bpe
v_lshrrev_b32 v0, 9, v[vgprLocalReadAddrB]         // Final Offset: padding 4 per block 512
v_lshlrev_b32 v0, 0x5, v0                          // Final Offset: padding 4 per block 512
_v_add_u32 v[vgprLocalReadAddrB], v0, v[vgprLocalReadAddrB] // Final Offset: add padding 4 per block 512


/* local read addresses: declare addresses a */

/* N/A */


/* local read addresses: declare addresses b */

_v_add_co_u32 v[vgprLocalReadAddrB+0], vcc, 0x4000, v[vgprLocalReadAddrB+0] //  += LdsOffsetB (lower)


/* global read addresses: tile offset assignment a */

/* LVCA = 16 */
/* v0 = (local)groA-tile = serial%LVCA (note (wgA*MTA) will be added to SRD) */
/* v1 = groA-unroll = serial/LVCA */
v_lshrrev_b32 v1, 4, v[vgprSerial]                 // v1 = v[vgprSerial] / 16
v_and_b32 v0, 15, v[vgprSerial]                    // v0 = v[vgprSerial] % 16
/* gro-tile *= glvw */
v_lshlrev_b32 v0, 0x1, v0                          // v0 = v0 * 2


/* global read addresses: tile offset assignment b */

/* LVCB = 32 */
/* v2 = (local)groB-tile = serial/LVCB (note (wgB*MTB) will be added to SRD) */
/* v3 = groB-unroll = serial%LVCB */
v_lshrrev_b32 v2, 5, v[vgprSerial]                 // v2 = v[vgprSerial] / 32
v_and_b32 v3, 31, v[vgprSerial]                    // v3 = v[vgprSerial] % 32
/* gro-unroll *= glvw */
v_lshlrev_b32 v3, 0x1, v3                          // v3 = v3 * 2


/******************************************/
/* Local Write Addresses                  */
/******************************************/

/* lwaTileAssignmentA = v0 */

/* lwaTileAssignmentB = v2 */

/* lwaUnrollAssignmentA = v1 */

/* lwaUnrollAssignmentB = v3 */


/* local write addresses: first offset a */

v_mul_u32_u24 v[vgprLocalWriteAddrA], 0x20, v1     // lwAL**(MTA + PAD)
_v_add_lshl_u32 v[vgprLocalWriteAddrA], v0, v[vgprLocalWriteAddrA], 0x3 // lwFOA = (lwAA + lwAL*(MT0I+PAD))*bpe


/* local write addresses: first offset b */

v_mul_u32_u24 v[vgprLocalWriteAddrB], 0x40, v2     // lwBL**(DepthU_Compute + PAD)
_v_add_lshl_u32 v[vgprLocalWriteAddrB], v3, v[vgprLocalWriteAddrB], 0x3 // lwFOB = (lwBB + lwBL*(DepthU+PAD))*bpe
v_lshrrev_b32 v4, 9, v[vgprLocalWriteAddrB]        // padding 4 per block 512
v_lshlrev_b32 v4, 0x5, v4                          // padding 4 per block 512
_v_add_u32 v[vgprLocalWriteAddrB], v4, v[vgprLocalWriteAddrB] // add padding 4 per block 512
_v_add_co_u32 v[vgprLocalWriteAddrB], vcc, 0x4000, v[vgprLocalWriteAddrB] // lwFOB = lwB1J + lwBL*MT1J + LDS_OFFSET_B=2048*8







s_waitcnt lgkmcnt(0)                               // wait for 120 bytes of kern args
s_mov_b64 s[sgprSrdC+0:sgprSrdC+0+1], s[sgprAddressC+0:sgprAddressC+0+1] // copy addressC
s_mov_b64 s[sgprSrdD+0:sgprSrdD+0+1], s[sgprAddressD+0:sgprAddressD+0+1] // copy addressD
s_sub_u32 s[sgprSrdA+0], s[sgprAddressA+0], 16     // pre-pad to make room for possible pointer shift
s_subb_u32 s[sgprSrdA+1], s[sgprAddressA+1], 0     // pre-pad to make room for possible pointer shift
s_sub_u32 s[sgprSrdB+0], s[sgprAddressB+0], 16     // pre-pad to make room for possible pointer shift
s_subb_u32 s[sgprSrdB+1], s[sgprAddressB+1], 0     // pre-pad to make room for possible pointer shift

.set AddressD, UNDEF
.set AddressC, UNDEF
.set AddressA, UNDEF
.set AddressB, UNDEF

/* Short circuit condition if Alpha == 0, then sumDims=0 */
v_cmp_eq_f32 vcc, s[sgprAlpha], 0.0                // Alpha.real == 0.0f ?
s_cbranch_vccz label_AlphaNonZero                  // branch if Alpha.real != 0
v_cmp_eq_f32 vcc, s[sgprAlpha+1], 0.0              // Alpha.imag == 0.0f ?
s_cbranch_vccz label_AlphaNonZero                  // branch if Alpha.imag != 0
s_mov_b32 s[sgprSizesSum+0], 0x0                   // Set summation dim=0 if Alpha == 0
label_AlphaNonZero:


	;; [unrolled: 1-line block ×3, first 2 shown]
/******************************************/
/* Begin setupNewTile, isPap=False           */
/******************************************/


/* global read addresses: work-group */

/* graWorkGroup mapping */


/* global read addresses: unroll assignment a */

/* v1 */


/* global read addresses: unroll assignment b */

/* v3 */


/* global read addresses: other free assignments */

/* s[sgprWorkGroup2] */


/* global read addresses: tile offsets a */


	;; [unrolled: 1-line block ×3, first 2 shown]
/* global read addresses: tile offsets b */


	;; [unrolled: 1-line block ×3, first 2 shown]
/* global read addresses: unroll offsets a */


	;; [unrolled: 1-line block ×3, first 2 shown]
/* global read addresses: unroll offsets b */


	;; [unrolled: 1-line block ×3, first 2 shown]
/* global read addresses: branch a */


	;; [unrolled: 1-line block ×3, first 2 shown]
/* global read addresses: branch b */


	;; [unrolled: 1-line block ×3, first 2 shown]
/* global read addresses: final offsets a */

GLOBAL_OFFSET_A vgprGlobalReadOffsetA+0,  0,  1, 4 // gROA_0_0_0_0
s_mul_i32 s[sgprScalarGlobalReadOffsetA+0], s[sgprStrideAL], 16 // compute offset diff (scaled unrollDim)
s_lshl_b32 s[sgprScalarGlobalReadOffsetA+0], s[sgprScalarGlobalReadOffsetA+0], 0x3 // scalar offset *= bytes/element
s_mul_i32 s[sgprScalarGlobalReadOffsetA+1], s[sgprStrideAL], 32 // compute offset diff (scaled unrollDim)
s_lshl_b32 s[sgprScalarGlobalReadOffsetA+1], s[sgprScalarGlobalReadOffsetA+1], 0x3 // scalar offset *= bytes/element
	;; [unrolled: 2-line block ×3, first 2 shown]


/* global read addresses: final offsets b */

GLOBAL_OFFSET_B vgprGlobalReadOffsetB+0,  3,  2, 4 // gROB_0_0_0_0
s_mul_i32 s[sgprScalarGlobalReadOffsetB+0], s[sgprStrideB1J], 8 // compute offset diff (scaled tileDim)
s_lshl_b32 s[sgprScalarGlobalReadOffsetB+0], s[sgprScalarGlobalReadOffsetB+0], 0x3 // scalar offset *= bytes/element
s_mul_i32 s[sgprScalarGlobalReadOffsetB+1], s[sgprStrideB1J], 16 // compute offset diff (scaled tileDim)
s_lshl_b32 s[sgprScalarGlobalReadOffsetB+1], s[sgprScalarGlobalReadOffsetB+1], 0x3 // scalar offset *= bytes/element
s_mul_i32 s[sgprScalarGlobalReadOffsetB+2], s[sgprStrideB1J], 24 // compute offset diff (scaled tileDim)
s_lshl_b32 s[sgprScalarGlobalReadOffsetB+2], s[sgprScalarGlobalReadOffsetB+2], 0x3 // scalar offset *= bytes/element
s_mul_i32 s[sgprScalarGlobalReadOffsetB+3], s[sgprStrideB1J], 32 // compute offset diff (scaled tileDim)
s_lshl_b32 s[sgprScalarGlobalReadOffsetB+3], s[sgprScalarGlobalReadOffsetB+3], 0x3 // scalar offset *= bytes/element
s_mul_i32 s[sgprScalarGlobalReadOffsetB+4], s[sgprStrideB1J], 40 // compute offset diff (scaled tileDim)
s_lshl_b32 s[sgprScalarGlobalReadOffsetB+4], s[sgprScalarGlobalReadOffsetB+4], 0x3 // scalar offset *= bytes/element
s_mul_i32 s[sgprScalarGlobalReadOffsetB+5], s[sgprStrideB1J], 48 // compute offset diff (scaled tileDim)
s_lshl_b32 s[sgprScalarGlobalReadOffsetB+5], s[sgprScalarGlobalReadOffsetB+5], 0x3 // scalar offset *= bytes/element
s_mul_i32 s[sgprScalarGlobalReadOffsetB+6], s[sgprStrideB1J], 56 // compute offset diff (scaled tileDim)
s_lshl_b32 s[sgprScalarGlobalReadOffsetB+6], s[sgprScalarGlobalReadOffsetB+6], 0x3 // scalar offset *= bytes/element
s_mul_i32 s[sgprScalarGlobalReadOffsetB+7], s[sgprStrideB1J], 64 // compute offset diff (scaled tileDim)
s_lshl_b32 s[sgprScalarGlobalReadOffsetB+7], s[sgprScalarGlobalReadOffsetB+7], 0x3 // scalar offset *= bytes/element
s_mul_i32 s[sgprScalarGlobalReadOffsetB+8], s[sgprStrideB1J], 72 // compute offset diff (scaled tileDim)
s_lshl_b32 s[sgprScalarGlobalReadOffsetB+8], s[sgprScalarGlobalReadOffsetB+8], 0x3 // scalar offset *= bytes/element


/* global read addresses: addresses a */

/* max read offset = size[n] * stride[n-1] */
s_mul_hi_u32 s67, s[sgprWorkGroup0], 32            // WorkGroup[01] * MT
s_mul_i32 s66, s[sgprWorkGroup0], 32               // WorkGroup[01] * MT
s_sub_u32 s[sgprShadowLimitA+0], s[sgprTensor2dSizeA], s66 // sub tileStart
s_subb_u32 s[sgprShadowLimitA+1], s[sgprTensor2dSizeA+1], s67 // sub tileStart
s_lshl_b64 s[sgprShadowLimitA:sgprShadowLimitA+1], s[sgprShadowLimitA:sgprShadowLimitA+1], 0x3 // Set limit to use bytes
s_add_u32 s[sgprShadowLimitA+0], s[sgprShadowLimitA+0], 16 // extend limit for pre-pad
s_addc_u32 s[sgprShadowLimitA+1], s[sgprShadowLimitA+1], 0 // extend limit for pre-pad
s_cmp_eq_u32 s[sgprShadowLimitA+1], 0              // are we within 2^32?
s_cselect_b32 s[sgprSrdA+2], s[sgprShadowLimitA+0], BufferLimitA // Move shadow to real if we are within 2^32
s_mul_hi_u32 s35, s[sgprStrideAK], s[sgprWorkGroup2] // Stride*WG
s_mul_i32 s34, s[sgprStrideAK], s[sgprWorkGroup2]  // Stride*WG
s_add_u32 s66, s66, s34                            // accum wg term to tilestart
s_addc_u32 s67, s67, s35                           // accum wg term to tilestart
s_lshl_b64 s[66:67], s[66:67], 0x3                 // tileStart *= BPE
s_add_u32 s[sgprSrdA+0], s[sgprSrdA+0], s66        // SRD base = Address+ tileStart0
s_addc_u32 s[sgprSrdA+1], s[sgprSrdA+1], s67       // SRD base = Address+ tileStart1
s_mov_b32 s[sgprSrdA+3], Srd127_96                 // Set bits 127_96 in SRD


/* global read addresses: addresses b */

/* max read offset = size[n] * stride[n-1] */
s_mul_hi_u32 s67, s[sgprWorkGroup1], 80            // WorkGroup[01] * MT
s_mul_i32 s66, s[sgprWorkGroup1], 80               // WorkGroup[01] * MT
s_mul_hi_u32 s67, s66, s[sgprStrideB1J]            // tlu=0, scaled tile-offset by stride
s_mul_i32 s66, s66, s[sgprStrideB1J]               // tlu=0, scaled tile-offset by stride
s_sub_u32 s[sgprShadowLimitB+0], s[sgprTensor2dSizeB], s66 // sub tileStart
s_subb_u32 s[sgprShadowLimitB+1], s[sgprTensor2dSizeB+1], s67 // sub tileStart
s_lshl_b64 s[sgprShadowLimitB:sgprShadowLimitB+1], s[sgprShadowLimitB:sgprShadowLimitB+1], 0x3 // Set limit to use bytes
s_add_u32 s[sgprShadowLimitB+0], s[sgprShadowLimitB+0], 16 // extend limit for pre-pad
s_addc_u32 s[sgprShadowLimitB+1], s[sgprShadowLimitB+1], 0 // extend limit for pre-pad
s_cmp_eq_u32 s[sgprShadowLimitB+1], 0              // are we within 2^32?
s_cselect_b32 s[sgprSrdB+2], s[sgprShadowLimitB+0], BufferLimitB // Move shadow to real if we are within 2^32
s_mul_hi_u32 s35, s[sgprStrideBK], s[sgprWorkGroup2] // Stride*WG
s_mul_i32 s34, s[sgprStrideBK], s[sgprWorkGroup2]  // Stride*WG
s_add_u32 s66, s66, s34                            // accum wg term to tilestart
s_addc_u32 s67, s67, s35                           // accum wg term to tilestart
s_lshl_b64 s[66:67], s[66:67], 0x3                 // tileStart *= BPE
s_add_u32 s[sgprSrdB+0], s[sgprSrdB+0], s66        // SRD base = Address+ tileStart0
s_addc_u32 s[sgprSrdB+1], s[sgprSrdB+1], s67       // SRD base = Address+ tileStart1
s_mov_b32 s[sgprSrdB+3], Srd127_96                 // Set bits 127_96 in SRD


/* global read addresses: increments a */

s_mul_i32 s[sgprGlobalReadIncsA+0], DepthU*BpeA, s[sgprStrideAL] // incrA unrollIdx)


/* global read addresses: increments b */

s_mov_b32 s[sgprGlobalReadIncsB+0], DepthU*BpeB    // incrB (unrollIdx)

/* declare loop num iterations */


s_lshr_b32 s[sgprLoopCounterL], s[sgprSizesSum+0], 6 // s[sgprLoopCounterL] = s[sgprSizesSum+0] / 64
s_mov_b32 s[sgprOrigLoopCounter], s[sgprLoopCounterL] // copy loop counter

/* local read addresses: init pointers a */


/* localReadInitPointers */

/* local read addresses: init pointers b */


/* localReadInitPointers */


/* prefetch: global -> local */

s_cmp_eq_u32 s[sgprLoopCounterL], 0                // at last iteration?
s_cbranch_scc1 ShadowInitStart_10                  // skip to ShadowInitStart iter b/c numIter==0


_buffer_load_b128 v[vgprG2LA+0:vgprG2LA+0+3], v[vgprGlobalReadOffsetA+0], s[sgprSrdA:sgprSrdA+3], 0, offen offset:0 // G -> Reg 0_0_0_0
_buffer_load_b128 v[vgprG2LA+4:vgprG2LA+4+3], v[vgprGlobalReadOffsetA+0], s[sgprSrdA:sgprSrdA+3], s[sgprScalarGlobalReadOffsetA+0], offen offset:0 // G -> Reg 0_0_1_0
_buffer_load_b128 v[vgprG2LA+8:vgprG2LA+8+3], v[vgprGlobalReadOffsetA+0], s[sgprSrdA:sgprSrdA+3], s[sgprScalarGlobalReadOffsetA+1], offen offset:0 // G -> Reg 0_0_2_0
_buffer_load_b128 v[vgprG2LA+12:vgprG2LA+12+3], v[vgprGlobalReadOffsetA+0], s[sgprSrdA:sgprSrdA+3], s[sgprScalarGlobalReadOffsetA+2], offen offset:0 // G -> Reg 0_0_3_0


_buffer_load_b128 v[vgprG2LB+0:vgprG2LB+0+3], v[vgprGlobalReadOffsetB+0], s[sgprSrdB:sgprSrdB+3], 0, offen offset:0 // G -> Reg 0_0_0_0
_buffer_load_b128 v[vgprG2LB+4:vgprG2LB+4+3], v[vgprGlobalReadOffsetB+0], s[sgprSrdB:sgprSrdB+3], s[sgprScalarGlobalReadOffsetB+0], offen offset:0 // G -> Reg 0_0_1_0
_buffer_load_b128 v[vgprG2LB+8:vgprG2LB+8+3], v[vgprGlobalReadOffsetB+0], s[sgprSrdB:sgprSrdB+3], s[sgprScalarGlobalReadOffsetB+1], offen offset:0 // G -> Reg 0_0_2_0
_buffer_load_b128 v[vgprG2LB+12:vgprG2LB+12+3], v[vgprGlobalReadOffsetB+0], s[sgprSrdB:sgprSrdB+3], s[sgprScalarGlobalReadOffsetB+2], offen offset:0 // G -> Reg 0_0_3_0
_buffer_load_b128 v[vgprG2LB+16:vgprG2LB+16+3], v[vgprGlobalReadOffsetB+0], s[sgprSrdB:sgprSrdB+3], s[sgprScalarGlobalReadOffsetB+3], offen offset:0 // G -> Reg 0_0_4_0
_buffer_load_b128 v[vgprG2LB+20:vgprG2LB+20+3], v[vgprGlobalReadOffsetB+0], s[sgprSrdB:sgprSrdB+3], s[sgprScalarGlobalReadOffsetB+4], offen offset:0 // G -> Reg 0_0_5_0
_buffer_load_b128 v[vgprG2LB+24:vgprG2LB+24+3], v[vgprGlobalReadOffsetB+0], s[sgprSrdB:sgprSrdB+3], s[sgprScalarGlobalReadOffsetB+5], offen offset:0 // G -> Reg 0_0_6_0
_buffer_load_b128 v[vgprG2LB+28:vgprG2LB+28+3], v[vgprGlobalReadOffsetB+0], s[sgprSrdB:sgprSrdB+3], s[sgprScalarGlobalReadOffsetB+6], offen offset:0 // G -> Reg 0_0_7_0
_buffer_load_b128 v[vgprG2LB+32:vgprG2LB+32+3], v[vgprGlobalReadOffsetB+0], s[sgprSrdB:sgprSrdB+3], s[sgprScalarGlobalReadOffsetB+7], offen offset:0 // G -> Reg 0_0_8_0
_buffer_load_b128 v[vgprG2LB+36:vgprG2LB+36+3], v[vgprGlobalReadOffsetB+0], s[sgprSrdB:sgprSrdB+3], s[sgprScalarGlobalReadOffsetB+8], offen offset:0 // G -> Reg 0_0_9_0


/* global read inc A loopL */
s_add_u32 s[sgprSrdA+0], s[sgprSrdA+0], s[sgprGlobalReadIncsA+0] // gra SRD += inc(lower)
s_addc_u32  s[sgprSrdA+1], s[sgprSrdA+1], 0        // gra SRD += inc(upper)
s_sub_u32 s[sgprShadowLimitA+0], s[sgprShadowLimitA+0], s[sgprGlobalReadIncsA+0] // limit -= inc)
s_subb_u32 s[sgprShadowLimitA+1], s[sgprShadowLimitA+1], 0 // limit -= inc)
s_cmp_eq_u32 s[sgprShadowLimitA+1], 0              // are we within 2^32?
s_cmov_b32 s[sgprSrdA+2], s[sgprShadowLimitA+0]    // Move shadow to real if we are within 2^32

/* global read inc B loopL */
s_add_u32 s[sgprSrdB+0], s[sgprSrdB+0], s[sgprGlobalReadIncsB+0] // gra SRD += inc(lower)
s_addc_u32  s[sgprSrdB+1], s[sgprSrdB+1], 0        // gra SRD += inc(upper)
s_sub_u32 s[sgprShadowLimitB+0], s[sgprShadowLimitB+0], s[sgprGlobalReadIncsB+0] // limit -= inc)
s_subb_u32 s[sgprShadowLimitB+1], s[sgprShadowLimitB+1], 0 // limit -= inc)
s_cmp_eq_u32 s[sgprShadowLimitB+1], 0              // are we within 2^32?
s_cmov_b32 s[sgprSrdB+2], s[sgprShadowLimitB+0]    // Move shadow to real if we are within 2^32


/******************************************/
/* End setupNewTile, isPap=False             */
/******************************************/

ShadowInitStart_10: // 

s_mov_b32 s[sgprSrdD+2], BufferOOB                 // 
s_mov_b32 s[sgprSrdD+3], Srd127_96                 // Set bits 127_96 in post-loop SRD

s_mov_b32 s[sgprSrdC+2], BufferOOB                 // 
s_mov_b32 s[sgprSrdC+3], Srd127_96                 // Set bits 127_96 in post-loop SRD


s_mul_i32 s68, MT1, s[sgprWorkGroup1]              // <- wg1*MT1
s_mul_hi_u32 s67, s68, s[sgprStrideC1J]            // CScale s68 by Stride
s_mul_i32 s66, s68, s[sgprStrideC1J]               // CScale s68 by Stride
s_lshl_b64 s[66:67], s[66:67], 3                   // scale by bpe
s_add_u32 s[sgprSrdC+0], s[sgprSrdC+0], s66        // add lo to SRD
s_addc_u32 s[sgprSrdC+1], s[sgprSrdC+1], s67       // add hi to SRD
s_mul_hi_u32 s67, s68, s[sgprStrideD1J]            // Scale s68 by Stride
s_mul_i32 s66, s68, s[sgprStrideD1J]               // Scale s68 by Stride
s_lshl_b64 s[66:67], s[66:67], 3                   // scale by bpe
s_add_u32 s[sgprSrdD+0], s[sgprSrdD+0], s66        // add lo to SRD
s_addc_u32 s[sgprSrdD+1], s[sgprSrdD+1], s67       // add hi to SRD

s_mul_hi_u32 s67, s[sgprWorkGroup2], s[sgprStrideCK] // CScale s[sgprWorkGroup2] by Stride
s_mul_i32 s66, s[sgprWorkGroup2], s[sgprStrideCK]  // CScale s[sgprWorkGroup2] by Stride
s_lshl_b64 s[66:67], s[66:67], 3                   // scale by bpe
s_add_u32 s[sgprSrdC+0], s[sgprSrdC+0], s66        // add lo to SRD
s_addc_u32 s[sgprSrdC+1], s[sgprSrdC+1], s67       // add hi to SRD
s_mul_hi_u32 s67, s[sgprWorkGroup2], s[sgprStrideDK] // Scale s[sgprWorkGroup2] by Stride
s_mul_i32 s66, s[sgprWorkGroup2], s[sgprStrideDK]  // Scale s[sgprWorkGroup2] by Stride
s_lshl_b64 s[66:67], s[66:67], 3                   // scale by bpe
s_add_u32 s[sgprSrdD+0], s[sgprSrdD+0], s66        // add lo to SRD
s_addc_u32 s[sgprSrdD+1], s[sgprSrdD+1], s67       // add hi to SRD


	;; [unrolled: 1-line block ×3, first 2 shown]
/* initC: remove C-tile 0-40 from pool */

/* initC: remove AB-tile 40-136 from pool */
v_mov_b64 v[vgprValuC+0:vgprValuC+0+1], 0x0        // initC
v_mov_b64 v[vgprValuC+2:vgprValuC+2+1], 0x0        // initC
	;; [unrolled: 1-line block ×5, first 2 shown]
v_mov_b64 v[vgprValuC+10:vgprValuC+10+1], 0x0      // initC
v_mov_b64 v[vgprValuC+12:vgprValuC+12+1], 0x0      // initC
	;; [unrolled: 1-line block ×15, first 2 shown]

s_cmp_eq_u32 s[sgprLoopCounterL], 0                // at last iteration?

/* after InitC, skip to end of prefetch last iter if numIter==0 */
s_cbranch_scc0 label_NoBranch_11                   // Only branch on scc1
s_getpc_B64 s[66:67]                               // addr of next instr
s_add_i32 s68, PrefetchGlobalLastIterEnd_5, 0x4    // target branch offset
s_add_u32 s66, s66, s68                            // add target branch offset
s_addc_u32 s67, s67, 0                             // add high and carry
s_setpc_b64 s[66:67]                               // branch to PrefetchGlobalLastIterEnd_5
label_NoBranch_11:

s_waitcnt vmcnt(0)                                 // lgkmcnt=-1 vmcnt=0 8wait for global read


/* local write a */
_ds_store_b128 v[vgprLocalWriteAddrA], v[vgprG2LA+0:vgprG2LA+0+3] offset:0 // lwoA_0_0_0_0 = (0*LSCA) + (0*LSPA)(*MT0I+PAD) = 0
_ds_store_b128 v[vgprLocalWriteAddrA], v[vgprG2LA+4:vgprG2LA+4+3] offset:4096 // lwoA_0_0_1_0 = (0*LSCA) + (1*LSPA)(*MT0I+PAD) = 4096
_ds_store_b128 v[vgprLocalWriteAddrA], v[vgprG2LA+8:vgprG2LA+8+3] offset:8192 // lwoA_0_0_2_0 = (0*LSCA) + (2*LSPA)(*MT0I+PAD) = 8192
_ds_store_b128 v[vgprLocalWriteAddrA], v[vgprG2LA+12:vgprG2LA+12+3] offset:12288 // lwoA_0_0_3_0 = (0*LSCA) + (3*LSPA)(*MT0I+PAD) = 12288

/* local write b */
_ds_store_b128 v[vgprLocalWriteAddrB], v[vgprG2LB+0:vgprG2LB+0+3] offset:0 // lwoB_0_0_0_0 = (0*LSCB)*(MT1J+PAD) + (0*LSPB) = 0
_ds_store_b128 v[vgprLocalWriteAddrB], v[vgprG2LB+4:vgprG2LB+4+3] offset:4352 // lwoB_0_0_1_0 = (0*LSCB)*(MT1J+PAD) + (1*LSPB) = 4352
_ds_store_b128 v[vgprLocalWriteAddrB], v[vgprG2LB+8:vgprG2LB+8+3] offset:8704 // lwoB_0_0_2_0 = (0*LSCB)*(MT1J+PAD) + (2*LSPB) = 8704
_ds_store_b128 v[vgprLocalWriteAddrB], v[vgprG2LB+12:vgprG2LB+12+3] offset:13056 // lwoB_0_0_3_0 = (0*LSCB)*(MT1J+PAD) + (3*LSPB) = 13056
_ds_store_b128 v[vgprLocalWriteAddrB], v[vgprG2LB+16:vgprG2LB+16+3] offset:17408 // lwoB_0_0_4_0 = (0*LSCB)*(MT1J+PAD) + (4*LSPB) = 17408
_ds_store_b128 v[vgprLocalWriteAddrB], v[vgprG2LB+20:vgprG2LB+20+3] offset:21760 // lwoB_0_0_5_0 = (0*LSCB)*(MT1J+PAD) + (5*LSPB) = 21760
_ds_store_b128 v[vgprLocalWriteAddrB], v[vgprG2LB+24:vgprG2LB+24+3] offset:26112 // lwoB_0_0_6_0 = (0*LSCB)*(MT1J+PAD) + (6*LSPB) = 26112
_ds_store_b128 v[vgprLocalWriteAddrB], v[vgprG2LB+28:vgprG2LB+28+3] offset:30464 // lwoB_0_0_7_0 = (0*LSCB)*(MT1J+PAD) + (7*LSPB) = 30464
_ds_store_b128 v[vgprLocalWriteAddrB], v[vgprG2LB+32:vgprG2LB+32+3] offset:34816 // lwoB_0_0_8_0 = (0*LSCB)*(MT1J+PAD) + (8*LSPB) = 34816
_ds_store_b128 v[vgprLocalWriteAddrB], v[vgprG2LB+36:vgprG2LB+36+3] offset:39168 // lwoB_0_0_9_0 = (0*LSCB)*(MT1J+PAD) + (9*LSPB) = 39168


/* local write swap a */



/* local write swap b */


	;; [unrolled: 1-line block ×4, first 2 shown]
s_cmp_eq_u32 s[sgprLoopCounterL] 0x1               // PGR=2 but only 1 loop
s_cbranch_scc1 label_0012                          // PGR=2 but only 1 loop


_buffer_load_b128 v[vgprG2LA+0:vgprG2LA+0+3], v[vgprGlobalReadOffsetA+0], s[sgprSrdA:sgprSrdA+3], 0, offen offset:0 // G -> Reg 0_0_0_0
_buffer_load_b128 v[vgprG2LA+4:vgprG2LA+4+3], v[vgprGlobalReadOffsetA+0], s[sgprSrdA:sgprSrdA+3], s[sgprScalarGlobalReadOffsetA+0], offen offset:0 // G -> Reg 0_0_1_0
_buffer_load_b128 v[vgprG2LA+8:vgprG2LA+8+3], v[vgprGlobalReadOffsetA+0], s[sgprSrdA:sgprSrdA+3], s[sgprScalarGlobalReadOffsetA+1], offen offset:0 // G -> Reg 0_0_2_0
_buffer_load_b128 v[vgprG2LA+12:vgprG2LA+12+3], v[vgprGlobalReadOffsetA+0], s[sgprSrdA:sgprSrdA+3], s[sgprScalarGlobalReadOffsetA+2], offen offset:0 // G -> Reg 0_0_3_0


_buffer_load_b128 v[vgprG2LB+0:vgprG2LB+0+3], v[vgprGlobalReadOffsetB+0], s[sgprSrdB:sgprSrdB+3], 0, offen offset:0 // G -> Reg 0_0_0_0
_buffer_load_b128 v[vgprG2LB+4:vgprG2LB+4+3], v[vgprGlobalReadOffsetB+0], s[sgprSrdB:sgprSrdB+3], s[sgprScalarGlobalReadOffsetB+0], offen offset:0 // G -> Reg 0_0_1_0
_buffer_load_b128 v[vgprG2LB+8:vgprG2LB+8+3], v[vgprGlobalReadOffsetB+0], s[sgprSrdB:sgprSrdB+3], s[sgprScalarGlobalReadOffsetB+1], offen offset:0 // G -> Reg 0_0_2_0
_buffer_load_b128 v[vgprG2LB+12:vgprG2LB+12+3], v[vgprGlobalReadOffsetB+0], s[sgprSrdB:sgprSrdB+3], s[sgprScalarGlobalReadOffsetB+2], offen offset:0 // G -> Reg 0_0_3_0
_buffer_load_b128 v[vgprG2LB+16:vgprG2LB+16+3], v[vgprGlobalReadOffsetB+0], s[sgprSrdB:sgprSrdB+3], s[sgprScalarGlobalReadOffsetB+3], offen offset:0 // G -> Reg 0_0_4_0
_buffer_load_b128 v[vgprG2LB+20:vgprG2LB+20+3], v[vgprGlobalReadOffsetB+0], s[sgprSrdB:sgprSrdB+3], s[sgprScalarGlobalReadOffsetB+4], offen offset:0 // G -> Reg 0_0_5_0
_buffer_load_b128 v[vgprG2LB+24:vgprG2LB+24+3], v[vgprGlobalReadOffsetB+0], s[sgprSrdB:sgprSrdB+3], s[sgprScalarGlobalReadOffsetB+5], offen offset:0 // G -> Reg 0_0_6_0
_buffer_load_b128 v[vgprG2LB+28:vgprG2LB+28+3], v[vgprGlobalReadOffsetB+0], s[sgprSrdB:sgprSrdB+3], s[sgprScalarGlobalReadOffsetB+6], offen offset:0 // G -> Reg 0_0_7_0
_buffer_load_b128 v[vgprG2LB+32:vgprG2LB+32+3], v[vgprGlobalReadOffsetB+0], s[sgprSrdB:sgprSrdB+3], s[sgprScalarGlobalReadOffsetB+7], offen offset:0 // G -> Reg 0_0_8_0
_buffer_load_b128 v[vgprG2LB+36:vgprG2LB+36+3], v[vgprGlobalReadOffsetB+0], s[sgprSrdB:sgprSrdB+3], s[sgprScalarGlobalReadOffsetB+8], offen offset:0 // G -> Reg 0_0_9_0

label_0012:                                        // 

s_waitcnt lgkmcnt(0)                               // lgkmcnt=0 vmcnt=-10prefetch wait for local write

// Skip force waitcnt0
s_barrier //


/* local read prefetch a */

_ds_load_b64 v[vgprValuA_X0_I0+0:vgprValuA_X0_I0+0+1], v[vgprLocalReadAddrA] offset:0 // L -> Reg lro=0 swapByteOffset=0 ti=32 vIdx=0 rIdx=0 oIdx=0 buffer=0 iui=0


/* local read prefetch b */

_ds_load_b128 v[vgprValuB_X0_I0+0:vgprValuB_X0_I0+0+3], v[vgprLocalReadAddrB] offset:0 // L -> Reg lro=0 swapByteOffset=0 ti=16 vIdx=0 rIdx=0 oIdx=0 buffer=0 iui=0
_ds_load_b128 v[vgprValuB_X0_I0+4:vgprValuB_X0_I0+4+3], v[vgprLocalReadAddrB] offset:8704 // L -> Reg lro=0 swapByteOffset=0 ti=16 vIdx=1 rIdx=0 oIdx=0 buffer=0 iui=0
_ds_load_b128 v[vgprValuB_X0_I0+8:vgprValuB_X0_I0+8+3], v[vgprLocalReadAddrB] offset:17408 // L -> Reg lro=0 swapByteOffset=0 ti=16 vIdx=2 rIdx=0 oIdx=0 buffer=0 iui=0
_ds_load_b128 v[vgprValuB_X0_I0+12:vgprValuB_X0_I0+12+3], v[vgprLocalReadAddrB] offset:26112 // L -> Reg lro=0 swapByteOffset=0 ti=16 vIdx=3 rIdx=0 oIdx=0 buffer=0 iui=0
_ds_load_b128 v[vgprValuB_X0_I0+16:vgprValuB_X0_I0+16+3], v[vgprLocalReadAddrB] offset:34816 // L -> Reg lro=0 swapByteOffset=0 ti=16 vIdx=4 rIdx=0 oIdx=0 buffer=0 iui=0


/* local read inc a */

/* N/A, lro->32 */
/* self.localReadDoCntA 1 self.localReadDoCntB 1 */


/* local read inc b */

/* N/A, lro->16 */
/* self.localReadDoCntA 1 self.localReadDoCntB 1 */


	;; [unrolled: 1-line block ×3, first 2 shown]
/******************************************/
/* Unrolled Loop(s) - Begin               */
/******************************************/

openLoopL_13:
s_cmp_eq_u32 s[sgprLoopCounterL], 0x1              // LoopCounterL < EndCounter
s_cbranch_scc1 label_0014                          // PGR=2 but only 1 loop, toPGR1
s_cmp_le_u32 s[sgprLoopCounterL], 0x2              // LoopCounterL < EndCounter
s_cbranch_scc1 LoopEndL_evenexit_4                 // do not enter LoopL
LoopBeginL_1:


/******************************************/
/* Unrolled Loop 1/2 - Begin              */
/******************************************/

label_0015: // LoopCopy1 


/* Begin Each Unroll: Check VGPR.checkin for INT8 LW */


	;; [unrolled: 1-line block ×3, first 2 shown]
/* iter 0 */

/*  grEndMfmaIndex:4, lwStartMfmaIndex:28, lwEndMfmaIndex:147  */
/*  numMfmaForLR:10, barrierMfmaIndex:149, LocalWritePerMfma:0.110 */
/*  mfmaIndex:0  */
s_waitcnt lgkmcnt(0)                               // lgkmcnt=0 vmcnt=-1wait for prior local read local write old=0, new=0 newLW=0 newLR=0
v_add_f32 v199, -v[vgprValuA_X0_I0+0+0+0+1], 0     // Ai=-Ai
v_mfma_f32_16x16x4_f32 v[0+0:3+0], v[vgprValuB_X0_I0+0+0+0], v[vgprValuA_X0_I0+0+0+0], v[0:3]
 // Cr += Ar*Br
/*  mfmaIndex:1  */
_ds_load_b64 v[vgprValuA_X1_I0+0:vgprValuA_X1_I0+0+1], v[vgprLocalReadAddrA] offset:256 // L -> Reg lro=32 swapByteOffset=0 ti=32 vIdx=0 rIdx=0 oIdx=0 buffer=1 iui=0

/* global read inc A loopL */
s_add_u32 s[sgprSrdA+0], s[sgprSrdA+0], s[sgprGlobalReadIncsA+0] // gra SRD += inc(lower)
s_addc_u32  s[sgprSrdA+1], s[sgprSrdA+1], 0        // gra SRD += inc(upper)
s_sub_u32 s[sgprShadowLimitA+0], s[sgprShadowLimitA+0], s[sgprGlobalReadIncsA+0] // limit -= inc)
v_mfma_f32_16x16x4_f32 v[20+0:23+0], v[vgprValuB_X0_I0+0+0+0], v[vgprValuA_X0_I0+0+0+0+1], v[20:23]
 // Ci += Ai*Br
/*  mfmaIndex:2  */
_ds_load_b128 v[vgprValuB_X2_I0+0:vgprValuB_X2_I0+0+3], v[vgprLocalReadAddrB] offset:128 // L -> Reg lro=16 swapByteOffset=0 ti=16 vIdx=0 rIdx=0 oIdx=0 buffer=2 iui=0
s_subb_u32 s[sgprShadowLimitA+1], s[sgprShadowLimitA+1], 0 // limit -= inc)
s_cmp_eq_u32 s[sgprShadowLimitA+1], 0              // are we within 2^32?
s_cmov_b32 s[sgprSrdA+2], s[sgprShadowLimitA+0]    // Move shadow to real if we are within 2^32
v_mfma_f32_16x16x4_f32 v[0+0:3+0], v[vgprValuB_X0_I0+0+0+0+1], v199, v[0:3]
 // Cr += -Ai*Bi
/*  mfmaIndex:3  */
_ds_load_b128 v[vgprValuB_X2_I0+4:vgprValuB_X2_I0+4+3], v[vgprLocalReadAddrB] offset:8832 // L -> Reg lro=16 swapByteOffset=0 ti=16 vIdx=1 rIdx=0 oIdx=0 buffer=2 iui=0

/* global read inc B loopL */
s_add_u32 s[sgprSrdB+0], s[sgprSrdB+0], s[sgprGlobalReadIncsB+0] // gra SRD += inc(lower)
s_addc_u32  s[sgprSrdB+1], s[sgprSrdB+1], 0        // gra SRD += inc(upper)
s_sub_u32 s[sgprShadowLimitB+0], s[sgprShadowLimitB+0], s[sgprGlobalReadIncsB+0] // limit -= inc)
v_mfma_f32_16x16x4_f32 v[20+0:23+0], v[vgprValuB_X0_I0+0+0+0+1], v[vgprValuA_X0_I0+0+0+0], v[20:23]
 // Ci += Ar*Bi
/*  mfmaIndex:4  */
_ds_load_b128 v[vgprValuB_X2_I0+8:vgprValuB_X2_I0+8+3], v[vgprLocalReadAddrB] offset:17536 // L -> Reg lro=16 swapByteOffset=0 ti=16 vIdx=2 rIdx=0 oIdx=0 buffer=2 iui=0
s_subb_u32 s[sgprShadowLimitB+1], s[sgprShadowLimitB+1], 0 // limit -= inc)
s_cmp_eq_u32 s[sgprShadowLimitB+1], 0              // are we within 2^32?
s_cmov_b32 s[sgprSrdB+2], s[sgprShadowLimitB+0]    // Move shadow to real if we are within 2^32
v_mfma_f32_16x16x4_f32 v[4+0:7+0], v[vgprValuB_X0_I0+4+0+0], v[vgprValuA_X0_I0+0+0+0], v[4:7]
 // Cr += Ar*Br
/*  mfmaIndex:5  */
_ds_load_b128 v[vgprValuB_X2_I0+12:vgprValuB_X2_I0+12+3], v[vgprLocalReadAddrB] offset:26240 // L -> Reg lro=16 swapByteOffset=0 ti=16 vIdx=3 rIdx=0 oIdx=0 buffer=2 iui=0
v_mfma_f32_16x16x4_f32 v[24+0:27+0], v[vgprValuB_X0_I0+4+0+0], v[vgprValuA_X0_I0+0+0+0+1], v[24:27]
 // Ci += Ai*Br
/*  mfmaIndex:6  */
_ds_load_b128 v[vgprValuB_X2_I0+16:vgprValuB_X2_I0+16+3], v[vgprLocalReadAddrB] offset:34944 // L -> Reg lro=16 swapByteOffset=0 ti=16 vIdx=4 rIdx=0 oIdx=0 buffer=2 iui=0
/* localReadsVacancy: latencyLeft 1 */
v_mfma_f32_16x16x4_f32 v[4+0:7+0], v[vgprValuB_X0_I0+4+0+0+1], v199, v[4:7]
 // Cr += -Ai*Bi
/*  mfmaIndex:7  */
/* localReadsVacancy: latencyLeft 5 */
_ds_load_b64 v[vgprValuA_X2_I0+0:vgprValuA_X2_I0+0+1], v[vgprLocalReadAddrA] offset:4096 // L -> Reg lro=512 swapByteOffset=0 ti=32 vIdx=0 rIdx=0 oIdx=0 buffer=2 iui=0
v_mfma_f32_16x16x4_f32 v[24+0:27+0], v[vgprValuB_X0_I0+4+0+0+1], v[vgprValuA_X0_I0+0+0+0], v[24:27]
 // Ci += Ar*Bi
/*  mfmaIndex:8  */
/* localReadsVacancy: latencyLeft 5 */
_ds_load_b128 v[vgprValuB_X4_I0+0:vgprValuB_X4_I0+0+3], v[vgprLocalReadAddrB] offset:256 // L -> Reg lro=32 swapByteOffset=0 ti=16 vIdx=0 rIdx=0 oIdx=0 buffer=4 iui=0
v_mfma_f32_16x16x4_f32 v[8+0:11+0], v[vgprValuB_X0_I0+8+0+0], v[vgprValuA_X0_I0+0+0+0], v[8:11]
 // Cr += Ar*Br
/*  mfmaIndex:9  */
/* localReadsVacancy: latencyLeft 5 */
_ds_load_b128 v[vgprValuB_X4_I0+4:vgprValuB_X4_I0+4+3], v[vgprLocalReadAddrB] offset:8960 // L -> Reg lro=32 swapByteOffset=0 ti=16 vIdx=1 rIdx=0 oIdx=0 buffer=4 iui=0
v_mfma_f32_16x16x4_f32 v[28+0:31+0], v[vgprValuB_X0_I0+8+0+0], v[vgprValuA_X0_I0+0+0+0+1], v[28:31]
 // Ci += Ai*Br
/*  mfmaIndex:10  */
/* localReadsVacancy: latencyLeft 5 */
_ds_load_b128 v[vgprValuB_X4_I0+8:vgprValuB_X4_I0+8+3], v[vgprLocalReadAddrB] offset:17664 // L -> Reg lro=32 swapByteOffset=0 ti=16 vIdx=2 rIdx=0 oIdx=0 buffer=4 iui=0
v_mfma_f32_16x16x4_f32 v[8+0:11+0], v[vgprValuB_X0_I0+8+0+0+1], v199, v[8:11]
 // Cr += -Ai*Bi
/*  mfmaIndex:11  */
/* localReadsVacancy: latencyLeft 5 */
_ds_load_b128 v[vgprValuB_X4_I0+12:vgprValuB_X4_I0+12+3], v[vgprLocalReadAddrB] offset:26368 // L -> Reg lro=32 swapByteOffset=0 ti=16 vIdx=3 rIdx=0 oIdx=0 buffer=4 iui=0
v_mfma_f32_16x16x4_f32 v[28+0:31+0], v[vgprValuB_X0_I0+8+0+0+1], v[vgprValuA_X0_I0+0+0+0], v[28:31]
 // Ci += Ar*Bi
/*  mfmaIndex:12  */
/* localReadsVacancy: latencyLeft 5 */
_ds_load_b128 v[vgprValuB_X4_I0+16:vgprValuB_X4_I0+16+3], v[vgprLocalReadAddrB] offset:35072 // L -> Reg lro=32 swapByteOffset=0 ti=16 vIdx=4 rIdx=0 oIdx=0 buffer=4 iui=0
v_mfma_f32_16x16x4_f32 v[12+0:15+0], v[vgprValuB_X0_I0+12+0+0], v[vgprValuA_X0_I0+0+0+0], v[12:15]
 // Cr += Ar*Br
/*  mfmaIndex:13  */
/* localReadsVacancy: latencyLeft 5 */
_ds_load_b64 v[vgprValuA_X3_I0+0:vgprValuA_X3_I0+0+1], v[vgprLocalReadAddrA] offset:4352 // L -> Reg lro=544 swapByteOffset=0 ti=32 vIdx=0 rIdx=0 oIdx=0 buffer=3 iui=0
v_mfma_f32_16x16x4_f32 v[32+0:35+0], v[vgprValuB_X0_I0+12+0+0], v[vgprValuA_X0_I0+0+0+0+1], v[32:35]
 // Ci += Ai*Br
/*  mfmaIndex:14  */
/* localReadsVacancy: latencyLeft 5 */
_ds_load_b128 v[vgprValuB_X6_I0+0:vgprValuB_X6_I0+0+3], v[vgprLocalReadAddrB] offset:384 // L -> Reg lro=48 swapByteOffset=0 ti=16 vIdx=0 rIdx=0 oIdx=0 buffer=6 iui=0
v_mfma_f32_16x16x4_f32 v[12+0:15+0], v[vgprValuB_X0_I0+12+0+0+1], v199, v[12:15]
 // Cr += -Ai*Bi
/*  mfmaIndex:15  */
/* localReadsVacancy: latencyLeft 5 */
_ds_load_b128 v[vgprValuB_X6_I0+4:vgprValuB_X6_I0+4+3], v[vgprLocalReadAddrB] offset:9088 // L -> Reg lro=48 swapByteOffset=0 ti=16 vIdx=1 rIdx=0 oIdx=0 buffer=6 iui=0
v_mfma_f32_16x16x4_f32 v[32+0:35+0], v[vgprValuB_X0_I0+12+0+0+1], v[vgprValuA_X0_I0+0+0+0], v[32:35]
 // Ci += Ar*Bi
/*  mfmaIndex:16  */
/* localReadsVacancy: latencyLeft 5 */
_ds_load_b128 v[vgprValuB_X6_I0+8:vgprValuB_X6_I0+8+3], v[vgprLocalReadAddrB] offset:17792 // L -> Reg lro=48 swapByteOffset=0 ti=16 vIdx=2 rIdx=0 oIdx=0 buffer=6 iui=0
v_mfma_f32_16x16x4_f32 v[16+0:19+0], v[vgprValuB_X0_I0+16+0+0], v[vgprValuA_X0_I0+0+0+0], v[16:19]
 // Cr += Ar*Br
/*  mfmaIndex:17  */
/* localReadsVacancy: latencyLeft 5 */
_ds_load_b128 v[vgprValuB_X6_I0+12:vgprValuB_X6_I0+12+3], v[vgprLocalReadAddrB] offset:26496 // L -> Reg lro=48 swapByteOffset=0 ti=16 vIdx=3 rIdx=0 oIdx=0 buffer=6 iui=0
v_mfma_f32_16x16x4_f32 v[36+0:39+0], v[vgprValuB_X0_I0+16+0+0], v[vgprValuA_X0_I0+0+0+0+1], v[36:39]
 // Ci += Ai*Br
/*  mfmaIndex:18  */
/* localReadsVacancy: latencyLeft 5 */
_ds_load_b128 v[vgprValuB_X6_I0+16:vgprValuB_X6_I0+16+3], v[vgprLocalReadAddrB] offset:35200 // L -> Reg lro=48 swapByteOffset=0 ti=16 vIdx=4 rIdx=0 oIdx=0 buffer=6 iui=0
v_mfma_f32_16x16x4_f32 v[16+0:19+0], v[vgprValuB_X0_I0+16+0+0+1], v199, v[16:19]
 // Cr += -Ai*Bi
/*  mfmaIndex:19  */
/* localReadsVacancy: latencyLeft 5 */
_ds_load_b64 v[vgprValuA_X4_I0+0:vgprValuA_X4_I0+0+1], v[vgprLocalReadAddrA] offset:8192 // L -> Reg lro=1024 swapByteOffset=0 ti=32 vIdx=0 rIdx=0 oIdx=0 buffer=4 iui=0
_ds_load_b64 v[vgprValuA_X5_I0+0:vgprValuA_X5_I0+0+1], v[vgprLocalReadAddrA] offset:8448 // L -> Reg lro=1056 swapByteOffset=0 ti=32 vIdx=0 rIdx=0 oIdx=0 buffer=5 iui=0
v_mfma_f32_16x16x4_f32 v[36+0:39+0], v[vgprValuB_X0_I0+16+0+0+1], v[vgprValuA_X0_I0+0+0+0], v[36:39]
 // Ci += Ar*Bi
/* numPrefetchIter=0 */
/* dataAtIterA=-1 numReadsIterA=1 skipReadsIterA=1 readsPerIterA=1 */
/* dataAtIterB=-1 numReadsIterB=1 skipReadsIterB=1 readsPerIterB=5 */


/* iter 1 */

/*  grEndMfmaIndex:4, lwStartMfmaIndex:28, lwEndMfmaIndex:147  */
/*  numMfmaForLR:10, barrierMfmaIndex:149, LocalWritePerMfma:0.110 */
/*  mfmaIndex:20  */
/* localReadsVacancy: latencyLeft 5 */
_ds_load_b64 v[vgprValuA_X6_I0+0:vgprValuA_X6_I0+0+1], v[vgprLocalReadAddrA] offset:12288 // L -> Reg lro=1536 swapByteOffset=0 ti=32 vIdx=0 rIdx=0 oIdx=0 buffer=6 iui=0
_ds_load_b64 v[vgprValuA_X7_I0+0:vgprValuA_X7_I0+0+1], v[vgprLocalReadAddrA] offset:12544 // L -> Reg lro=1568 swapByteOffset=0 ti=32 vIdx=0 rIdx=0 oIdx=0 buffer=7 iui=0
s_waitcnt lgkmcnt(15)                              // lgkmcnt=0 vmcnt=-1wait for prior local read local write old=6, new=6 newLW=0 newLR=0
v_add_f32 v199, -v[vgprValuA_X1_I0+0+0+0+1], 0     // Ai=-Ai
v_mfma_f32_16x16x4_f32 v[0+0:3+0], v[vgprValuB_X0_I0+0+2+0], v[vgprValuA_X1_I0+0+0+0], v[0:3]
 // Cr += Ar*Br
/*  mfmaIndex:21  */
/* localReadsVacancy: latencyLeft 5 */
v_mfma_f32_16x16x4_f32 v[20+0:23+0], v[vgprValuB_X0_I0+0+2+0], v[vgprValuA_X1_I0+0+0+0+1], v[20:23]
 // Ci += Ai*Br
/*  mfmaIndex:22  */
/* localReadsVacancy: latencyLeft 5 */
v_mfma_f32_16x16x4_f32 v[0+0:3+0], v[vgprValuB_X0_I0+0+2+0+1], v199, v[0:3]
 // Cr += -Ai*Bi
/*  mfmaIndex:23  */
/* localReadsVacancy: latencyLeft 5 */
v_mfma_f32_16x16x4_f32 v[20+0:23+0], v[vgprValuB_X0_I0+0+2+0+1], v[vgprValuA_X1_I0+0+0+0], v[20:23]
 // Ci += Ar*Bi
/*  mfmaIndex:24  */
/* localReadsVacancy: latencyLeft 5 */
v_mfma_f32_16x16x4_f32 v[4+0:7+0], v[vgprValuB_X0_I0+4+2+0], v[vgprValuA_X1_I0+0+0+0], v[4:7]
 // Cr += Ar*Br
/*  mfmaIndex:25  */
/* localReadsVacancy: latencyLeft 5 */
v_mfma_f32_16x16x4_f32 v[24+0:27+0], v[vgprValuB_X0_I0+4+2+0], v[vgprValuA_X1_I0+0+0+0+1], v[24:27]
 // Ci += Ai*Br
/*  mfmaIndex:26  */
/* localReadsVacancy: latencyLeft 5 */
v_mfma_f32_16x16x4_f32 v[4+0:7+0], v[vgprValuB_X0_I0+4+2+0+1], v199, v[4:7]
 // Cr += -Ai*Bi
/*  mfmaIndex:27  */
/* localReadsVacancy: latencyLeft 5 */
/* 1 LDS buffer: read-sync-write */
s_waitcnt lgkmcnt(0)                               // 
s_barrier                                          // 
v_mfma_f32_16x16x4_f32 v[24+0:27+0], v[vgprValuB_X0_I0+4+2+0+1], v[vgprValuA_X1_I0+0+0+0], v[24:27]
 // Ci += Ar*Bi
/*  mfmaIndex:28  */
/* sched write - iter 1 writesPerItem=1 */
s_waitcnt vmcnt(0)                                 // lgkmcnt=-1 vmcnt=0wait for global read before writing to local
_ds_store_b128 v[vgprLocalWriteAddrA], v[vgprG2LA+0:vgprG2LA+0+3] offset:0 // lwoA_0_0_0_0 = (0*LSCA) + (0*LSPA)(*MT0I+PAD) = 0
v_mfma_f32_16x16x4_f32 v[8+0:11+0], v[vgprValuB_X0_I0+8+2+0], v[vgprValuA_X1_I0+0+0+0], v[8:11]
 // Cr += Ar*Br
/*  mfmaIndex:29  */
_buffer_load_b128 v[vgprG2LA+0:vgprG2LA+0+3], v[vgprGlobalReadOffsetA+0], s[sgprSrdA:sgprSrdA+3], 0, offen offset:0 // G -> Reg 0_0_0_0
v_mfma_f32_16x16x4_f32 v[28+0:31+0], v[vgprValuB_X0_I0+8+2+0], v[vgprValuA_X1_I0+0+0+0+1], v[28:31]
 // Ci += Ai*Br
/*  mfmaIndex:30  */
v_mfma_f32_16x16x4_f32 v[8+0:11+0], v[vgprValuB_X0_I0+8+2+0+1], v199, v[8:11]
 // Cr += -Ai*Bi
/*  mfmaIndex:31  */
v_mfma_f32_16x16x4_f32 v[28+0:31+0], v[vgprValuB_X0_I0+8+2+0+1], v[vgprValuA_X1_I0+0+0+0], v[28:31]
 // Ci += Ar*Bi
/*  mfmaIndex:32  */
v_mfma_f32_16x16x4_f32 v[12+0:15+0], v[vgprValuB_X0_I0+12+2+0], v[vgprValuA_X1_I0+0+0+0], v[12:15]
 // Cr += Ar*Br
/*  mfmaIndex:33  */
v_mfma_f32_16x16x4_f32 v[32+0:35+0], v[vgprValuB_X0_I0+12+2+0], v[vgprValuA_X1_I0+0+0+0+1], v[32:35]
 // Ci += Ai*Br
/*  mfmaIndex:34  */
v_mfma_f32_16x16x4_f32 v[12+0:15+0], v[vgprValuB_X0_I0+12+2+0+1], v199, v[12:15]
 // Cr += -Ai*Bi
/*  mfmaIndex:35  */
v_mfma_f32_16x16x4_f32 v[32+0:35+0], v[vgprValuB_X0_I0+12+2+0+1], v[vgprValuA_X1_I0+0+0+0], v[32:35]
 // Ci += Ar*Bi
/*  mfmaIndex:36  */
v_mfma_f32_16x16x4_f32 v[16+0:19+0], v[vgprValuB_X0_I0+16+2+0], v[vgprValuA_X1_I0+0+0+0], v[16:19]
 // Cr += Ar*Br
/*  mfmaIndex:37  */
/* sched write - iter 1 writesPerItem=1 */
s_waitcnt vmcnt(0)                                 // lgkmcnt=-1 vmcnt=0wait for global read before writing to local
_ds_store_b128 v[vgprLocalWriteAddrA], v[vgprG2LA+4:vgprG2LA+4+3] offset:4096 // lwoA_0_0_1_0 = (0*LSCA) + (1*LSPA)(*MT0I+PAD) = 4096
v_mfma_f32_16x16x4_f32 v[36+0:39+0], v[vgprValuB_X0_I0+16+2+0], v[vgprValuA_X1_I0+0+0+0+1], v[36:39]
 // Ci += Ai*Br
/*  mfmaIndex:38  */
_buffer_load_b128 v[vgprG2LA+4:vgprG2LA+4+3], v[vgprGlobalReadOffsetA+0], s[sgprSrdA:sgprSrdA+3], s[sgprScalarGlobalReadOffsetA+0], offen offset:0 // G -> Reg 0_0_1_0
v_mfma_f32_16x16x4_f32 v[16+0:19+0], v[vgprValuB_X0_I0+16+2+0+1], v199, v[16:19]
 // Cr += -Ai*Bi
/*  mfmaIndex:39  */
v_mfma_f32_16x16x4_f32 v[36+0:39+0], v[vgprValuB_X0_I0+16+2+0+1], v[vgprValuA_X1_I0+0+0+0], v[36:39]
 // Ci += Ar*Bi
/* numPrefetchIter=0 */
/* dataAtIterA=0 numReadsIterA=2 skipReadsIterA=1 readsPerIterA=1 */
/* dataAtIterB=-1 numReadsIterB=2 skipReadsIterB=0 readsPerIterB=5 */


/* iter 2 */

/*  grEndMfmaIndex:4, lwStartMfmaIndex:28, lwEndMfmaIndex:147  */
/*  numMfmaForLR:10, barrierMfmaIndex:149, LocalWritePerMfma:0.110 */
/*  mfmaIndex:40  */
v_add_f32 v199, -v[vgprValuA_X2_I0+0+0+0+1], 0     // Ai=-Ai
v_mfma_f32_16x16x4_f32 v[0+0:3+0], v[vgprValuB_X2_I0+0+0+0], v[vgprValuA_X2_I0+0+0+0], v[0:3]
 // Cr += Ar*Br
/*  mfmaIndex:41  */
v_mfma_f32_16x16x4_f32 v[20+0:23+0], v[vgprValuB_X2_I0+0+0+0], v[vgprValuA_X2_I0+0+0+0+1], v[20:23]
 // Ci += Ai*Br
/*  mfmaIndex:42  */
v_mfma_f32_16x16x4_f32 v[0+0:3+0], v[vgprValuB_X2_I0+0+0+0+1], v199, v[0:3]
 // Cr += -Ai*Bi
/*  mfmaIndex:43  */
v_mfma_f32_16x16x4_f32 v[20+0:23+0], v[vgprValuB_X2_I0+0+0+0+1], v[vgprValuA_X2_I0+0+0+0], v[20:23]
 // Ci += Ar*Bi
/*  mfmaIndex:44  */
v_mfma_f32_16x16x4_f32 v[4+0:7+0], v[vgprValuB_X2_I0+4+0+0], v[vgprValuA_X2_I0+0+0+0], v[4:7]
 // Cr += Ar*Br
/*  mfmaIndex:45  */
v_mfma_f32_16x16x4_f32 v[24+0:27+0], v[vgprValuB_X2_I0+4+0+0], v[vgprValuA_X2_I0+0+0+0+1], v[24:27]
 // Ci += Ai*Br
/*  mfmaIndex:46  */
/* sched write - iter 2 writesPerItem=1 */
s_waitcnt vmcnt(0)                                 // lgkmcnt=-1 vmcnt=0wait for global read before writing to local
_ds_store_b128 v[vgprLocalWriteAddrA], v[vgprG2LA+8:vgprG2LA+8+3] offset:8192 // lwoA_0_0_2_0 = (0*LSCA) + (2*LSPA)(*MT0I+PAD) = 8192
v_mfma_f32_16x16x4_f32 v[4+0:7+0], v[vgprValuB_X2_I0+4+0+0+1], v199, v[4:7]
 // Cr += -Ai*Bi
/*  mfmaIndex:47  */
_buffer_load_b128 v[vgprG2LA+8:vgprG2LA+8+3], v[vgprGlobalReadOffsetA+0], s[sgprSrdA:sgprSrdA+3], s[sgprScalarGlobalReadOffsetA+1], offen offset:0 // G -> Reg 0_0_2_0
v_mfma_f32_16x16x4_f32 v[24+0:27+0], v[vgprValuB_X2_I0+4+0+0+1], v[vgprValuA_X2_I0+0+0+0], v[24:27]
 // Ci += Ar*Bi
/*  mfmaIndex:48  */
v_mfma_f32_16x16x4_f32 v[8+0:11+0], v[vgprValuB_X2_I0+8+0+0], v[vgprValuA_X2_I0+0+0+0], v[8:11]
 // Cr += Ar*Br
/*  mfmaIndex:49  */
v_mfma_f32_16x16x4_f32 v[28+0:31+0], v[vgprValuB_X2_I0+8+0+0], v[vgprValuA_X2_I0+0+0+0+1], v[28:31]
 // Ci += Ai*Br
/*  mfmaIndex:50  */
v_mfma_f32_16x16x4_f32 v[8+0:11+0], v[vgprValuB_X2_I0+8+0+0+1], v199, v[8:11]
 // Cr += -Ai*Bi
/*  mfmaIndex:51  */
v_mfma_f32_16x16x4_f32 v[28+0:31+0], v[vgprValuB_X2_I0+8+0+0+1], v[vgprValuA_X2_I0+0+0+0], v[28:31]
 // Ci += Ar*Bi
/*  mfmaIndex:52  */
v_mfma_f32_16x16x4_f32 v[12+0:15+0], v[vgprValuB_X2_I0+12+0+0], v[vgprValuA_X2_I0+0+0+0], v[12:15]
 // Cr += Ar*Br
/*  mfmaIndex:53  */
v_mfma_f32_16x16x4_f32 v[32+0:35+0], v[vgprValuB_X2_I0+12+0+0], v[vgprValuA_X2_I0+0+0+0+1], v[32:35]
 // Ci += Ai*Br
/*  mfmaIndex:54  */
v_mfma_f32_16x16x4_f32 v[12+0:15+0], v[vgprValuB_X2_I0+12+0+0+1], v199, v[12:15]
 // Cr += -Ai*Bi
/*  mfmaIndex:55  */
/* sched write - iter 2 writesPerItem=1 */
s_waitcnt vmcnt(0)                                 // lgkmcnt=-1 vmcnt=0wait for global read before writing to local
_ds_store_b128 v[vgprLocalWriteAddrA], v[vgprG2LA+12:vgprG2LA+12+3] offset:12288 // lwoA_0_0_3_0 = (0*LSCA) + (3*LSPA)(*MT0I+PAD) = 12288
v_mfma_f32_16x16x4_f32 v[32+0:35+0], v[vgprValuB_X2_I0+12+0+0+1], v[vgprValuA_X2_I0+0+0+0], v[32:35]
 // Ci += Ar*Bi
/*  mfmaIndex:56  */
_buffer_load_b128 v[vgprG2LA+12:vgprG2LA+12+3], v[vgprGlobalReadOffsetA+0], s[sgprSrdA:sgprSrdA+3], s[sgprScalarGlobalReadOffsetA+2], offen offset:0 // G -> Reg 0_0_3_0
v_mfma_f32_16x16x4_f32 v[16+0:19+0], v[vgprValuB_X2_I0+16+0+0], v[vgprValuA_X2_I0+0+0+0], v[16:19]
 // Cr += Ar*Br
/*  mfmaIndex:57  */
v_mfma_f32_16x16x4_f32 v[36+0:39+0], v[vgprValuB_X2_I0+16+0+0], v[vgprValuA_X2_I0+0+0+0+1], v[36:39]
 // Ci += Ai*Br
/*  mfmaIndex:58  */
v_mfma_f32_16x16x4_f32 v[16+0:19+0], v[vgprValuB_X2_I0+16+0+0+1], v199, v[16:19]
 // Cr += -Ai*Bi
/*  mfmaIndex:59  */
v_mfma_f32_16x16x4_f32 v[36+0:39+0], v[vgprValuB_X2_I0+16+0+0+1], v[vgprValuA_X2_I0+0+0+0], v[36:39]
 // Ci += Ar*Bi


/* iter 3 */

/*  grEndMfmaIndex:4, lwStartMfmaIndex:28, lwEndMfmaIndex:147  */
/*  numMfmaForLR:10, barrierMfmaIndex:149, LocalWritePerMfma:0.110 */
/*  mfmaIndex:60  */
v_add_f32 v199, -v[vgprValuA_X3_I0+0+0+0+1], 0     // Ai=-Ai
v_mfma_f32_16x16x4_f32 v[0+0:3+0], v[vgprValuB_X2_I0+0+2+0], v[vgprValuA_X3_I0+0+0+0], v[0:3]
 // Cr += Ar*Br
/*  mfmaIndex:61  */
v_mfma_f32_16x16x4_f32 v[20+0:23+0], v[vgprValuB_X2_I0+0+2+0], v[vgprValuA_X3_I0+0+0+0+1], v[20:23]
 // Ci += Ai*Br
/*  mfmaIndex:62  */
v_mfma_f32_16x16x4_f32 v[0+0:3+0], v[vgprValuB_X2_I0+0+2+0+1], v199, v[0:3]
 // Cr += -Ai*Bi
/*  mfmaIndex:63  */
v_mfma_f32_16x16x4_f32 v[20+0:23+0], v[vgprValuB_X2_I0+0+2+0+1], v[vgprValuA_X3_I0+0+0+0], v[20:23]
 // Ci += Ar*Bi
/*  mfmaIndex:64  */
/* sched write - iter 3 writesPerItem=1 */
s_waitcnt vmcnt(0)                                 // lgkmcnt=-1 vmcnt=0wait for global read before writing to local
_ds_store_b128 v[vgprLocalWriteAddrB], v[vgprG2LB+0:vgprG2LB+0+3] offset:0 // lwoB_0_0_0_0 = (0*LSCB)*(MT1J+PAD) + (0*LSPB) = 0
v_mfma_f32_16x16x4_f32 v[4+0:7+0], v[vgprValuB_X2_I0+4+2+0], v[vgprValuA_X3_I0+0+0+0], v[4:7]
 // Cr += Ar*Br
/*  mfmaIndex:65  */
_buffer_load_b128 v[vgprG2LB+0:vgprG2LB+0+3], v[vgprGlobalReadOffsetB+0], s[sgprSrdB:sgprSrdB+3], 0, offen offset:0 // G -> Reg 0_0_0_0
v_mfma_f32_16x16x4_f32 v[24+0:27+0], v[vgprValuB_X2_I0+4+2+0], v[vgprValuA_X3_I0+0+0+0+1], v[24:27]
 // Ci += Ai*Br
/*  mfmaIndex:66  */
v_mfma_f32_16x16x4_f32 v[4+0:7+0], v[vgprValuB_X2_I0+4+2+0+1], v199, v[4:7]
 // Cr += -Ai*Bi
/*  mfmaIndex:67  */
v_mfma_f32_16x16x4_f32 v[24+0:27+0], v[vgprValuB_X2_I0+4+2+0+1], v[vgprValuA_X3_I0+0+0+0], v[24:27]
 // Ci += Ar*Bi
/*  mfmaIndex:68  */
v_mfma_f32_16x16x4_f32 v[8+0:11+0], v[vgprValuB_X2_I0+8+2+0], v[vgprValuA_X3_I0+0+0+0], v[8:11]
 // Cr += Ar*Br
/*  mfmaIndex:69  */
v_mfma_f32_16x16x4_f32 v[28+0:31+0], v[vgprValuB_X2_I0+8+2+0], v[vgprValuA_X3_I0+0+0+0+1], v[28:31]
 // Ci += Ai*Br
/*  mfmaIndex:70  */
v_mfma_f32_16x16x4_f32 v[8+0:11+0], v[vgprValuB_X2_I0+8+2+0+1], v199, v[8:11]
 // Cr += -Ai*Bi
/*  mfmaIndex:71  */
v_mfma_f32_16x16x4_f32 v[28+0:31+0], v[vgprValuB_X2_I0+8+2+0+1], v[vgprValuA_X3_I0+0+0+0], v[28:31]
 // Ci += Ar*Bi
/*  mfmaIndex:72  */
v_mfma_f32_16x16x4_f32 v[12+0:15+0], v[vgprValuB_X2_I0+12+2+0], v[vgprValuA_X3_I0+0+0+0], v[12:15]
 // Cr += Ar*Br
/*  mfmaIndex:73  */
/* sched write - iter 3 writesPerItem=1 */
s_waitcnt vmcnt(0)                                 // lgkmcnt=-1 vmcnt=0wait for global read before writing to local
_ds_store_b128 v[vgprLocalWriteAddrB], v[vgprG2LB+4:vgprG2LB+4+3] offset:4352 // lwoB_0_0_1_0 = (0*LSCB)*(MT1J+PAD) + (1*LSPB) = 4352
v_mfma_f32_16x16x4_f32 v[32+0:35+0], v[vgprValuB_X2_I0+12+2+0], v[vgprValuA_X3_I0+0+0+0+1], v[32:35]
 // Ci += Ai*Br
/*  mfmaIndex:74  */
_buffer_load_b128 v[vgprG2LB+4:vgprG2LB+4+3], v[vgprGlobalReadOffsetB+0], s[sgprSrdB:sgprSrdB+3], s[sgprScalarGlobalReadOffsetB+0], offen offset:0 // G -> Reg 0_0_1_0
v_mfma_f32_16x16x4_f32 v[12+0:15+0], v[vgprValuB_X2_I0+12+2+0+1], v199, v[12:15]
 // Cr += -Ai*Bi
/*  mfmaIndex:75  */
v_mfma_f32_16x16x4_f32 v[32+0:35+0], v[vgprValuB_X2_I0+12+2+0+1], v[vgprValuA_X3_I0+0+0+0], v[32:35]
 // Ci += Ar*Bi
/*  mfmaIndex:76  */
v_mfma_f32_16x16x4_f32 v[16+0:19+0], v[vgprValuB_X2_I0+16+2+0], v[vgprValuA_X3_I0+0+0+0], v[16:19]
 // Cr += Ar*Br
/*  mfmaIndex:77  */
v_mfma_f32_16x16x4_f32 v[36+0:39+0], v[vgprValuB_X2_I0+16+2+0], v[vgprValuA_X3_I0+0+0+0+1], v[36:39]
 // Ci += Ai*Br
/*  mfmaIndex:78  */
v_mfma_f32_16x16x4_f32 v[16+0:19+0], v[vgprValuB_X2_I0+16+2+0+1], v199, v[16:19]
 // Cr += -Ai*Bi
/*  mfmaIndex:79  */
v_mfma_f32_16x16x4_f32 v[36+0:39+0], v[vgprValuB_X2_I0+16+2+0+1], v[vgprValuA_X3_I0+0+0+0], v[36:39]
 // Ci += Ar*Bi


/* iter 4 */

/*  grEndMfmaIndex:4, lwStartMfmaIndex:28, lwEndMfmaIndex:147  */
/*  numMfmaForLR:10, barrierMfmaIndex:149, LocalWritePerMfma:0.110 */
/*  mfmaIndex:80  */
v_add_f32 v199, -v[vgprValuA_X4_I0+0+0+0+1], 0     // Ai=-Ai
v_mfma_f32_16x16x4_f32 v[0+0:3+0], v[vgprValuB_X4_I0+0+0+0], v[vgprValuA_X4_I0+0+0+0], v[0:3]
 // Cr += Ar*Br
/*  mfmaIndex:81  */
v_mfma_f32_16x16x4_f32 v[20+0:23+0], v[vgprValuB_X4_I0+0+0+0], v[vgprValuA_X4_I0+0+0+0+1], v[20:23]
 // Ci += Ai*Br
/*  mfmaIndex:82  */
/* sched write - iter 4 writesPerItem=1 */
s_waitcnt vmcnt(0)                                 // lgkmcnt=-1 vmcnt=0wait for global read before writing to local
_ds_store_b128 v[vgprLocalWriteAddrB], v[vgprG2LB+8:vgprG2LB+8+3] offset:8704 // lwoB_0_0_2_0 = (0*LSCB)*(MT1J+PAD) + (2*LSPB) = 8704
v_mfma_f32_16x16x4_f32 v[0+0:3+0], v[vgprValuB_X4_I0+0+0+0+1], v199, v[0:3]
 // Cr += -Ai*Bi
/*  mfmaIndex:83  */
_buffer_load_b128 v[vgprG2LB+8:vgprG2LB+8+3], v[vgprGlobalReadOffsetB+0], s[sgprSrdB:sgprSrdB+3], s[sgprScalarGlobalReadOffsetB+1], offen offset:0 // G -> Reg 0_0_2_0
v_mfma_f32_16x16x4_f32 v[20+0:23+0], v[vgprValuB_X4_I0+0+0+0+1], v[vgprValuA_X4_I0+0+0+0], v[20:23]
 // Ci += Ar*Bi
/*  mfmaIndex:84  */
v_mfma_f32_16x16x4_f32 v[4+0:7+0], v[vgprValuB_X4_I0+4+0+0], v[vgprValuA_X4_I0+0+0+0], v[4:7]
 // Cr += Ar*Br
/*  mfmaIndex:85  */
v_mfma_f32_16x16x4_f32 v[24+0:27+0], v[vgprValuB_X4_I0+4+0+0], v[vgprValuA_X4_I0+0+0+0+1], v[24:27]
 // Ci += Ai*Br
/*  mfmaIndex:86  */
v_mfma_f32_16x16x4_f32 v[4+0:7+0], v[vgprValuB_X4_I0+4+0+0+1], v199, v[4:7]
 // Cr += -Ai*Bi
/*  mfmaIndex:87  */
v_mfma_f32_16x16x4_f32 v[24+0:27+0], v[vgprValuB_X4_I0+4+0+0+1], v[vgprValuA_X4_I0+0+0+0], v[24:27]
 // Ci += Ar*Bi
/*  mfmaIndex:88  */
v_mfma_f32_16x16x4_f32 v[8+0:11+0], v[vgprValuB_X4_I0+8+0+0], v[vgprValuA_X4_I0+0+0+0], v[8:11]
 // Cr += Ar*Br
/*  mfmaIndex:89  */
v_mfma_f32_16x16x4_f32 v[28+0:31+0], v[vgprValuB_X4_I0+8+0+0], v[vgprValuA_X4_I0+0+0+0+1], v[28:31]
 // Ci += Ai*Br
/*  mfmaIndex:90  */
v_mfma_f32_16x16x4_f32 v[8+0:11+0], v[vgprValuB_X4_I0+8+0+0+1], v199, v[8:11]
 // Cr += -Ai*Bi
/*  mfmaIndex:91  */
/* sched write - iter 4 writesPerItem=1 */
s_waitcnt vmcnt(0)                                 // lgkmcnt=-1 vmcnt=0wait for global read before writing to local
_ds_store_b128 v[vgprLocalWriteAddrB], v[vgprG2LB+12:vgprG2LB+12+3] offset:13056 // lwoB_0_0_3_0 = (0*LSCB)*(MT1J+PAD) + (3*LSPB) = 13056
v_mfma_f32_16x16x4_f32 v[28+0:31+0], v[vgprValuB_X4_I0+8+0+0+1], v[vgprValuA_X4_I0+0+0+0], v[28:31]
 // Ci += Ar*Bi
/*  mfmaIndex:92  */
_buffer_load_b128 v[vgprG2LB+12:vgprG2LB+12+3], v[vgprGlobalReadOffsetB+0], s[sgprSrdB:sgprSrdB+3], s[sgprScalarGlobalReadOffsetB+2], offen offset:0 // G -> Reg 0_0_3_0
v_mfma_f32_16x16x4_f32 v[12+0:15+0], v[vgprValuB_X4_I0+12+0+0], v[vgprValuA_X4_I0+0+0+0], v[12:15]
 // Cr += Ar*Br
/*  mfmaIndex:93  */
v_mfma_f32_16x16x4_f32 v[32+0:35+0], v[vgprValuB_X4_I0+12+0+0], v[vgprValuA_X4_I0+0+0+0+1], v[32:35]
 // Ci += Ai*Br
/*  mfmaIndex:94  */
v_mfma_f32_16x16x4_f32 v[12+0:15+0], v[vgprValuB_X4_I0+12+0+0+1], v199, v[12:15]
 // Cr += -Ai*Bi
/*  mfmaIndex:95  */
v_mfma_f32_16x16x4_f32 v[32+0:35+0], v[vgprValuB_X4_I0+12+0+0+1], v[vgprValuA_X4_I0+0+0+0], v[32:35]
 // Ci += Ar*Bi
/*  mfmaIndex:96  */
v_mfma_f32_16x16x4_f32 v[16+0:19+0], v[vgprValuB_X4_I0+16+0+0], v[vgprValuA_X4_I0+0+0+0], v[16:19]
 // Cr += Ar*Br
/*  mfmaIndex:97  */
v_mfma_f32_16x16x4_f32 v[36+0:39+0], v[vgprValuB_X4_I0+16+0+0], v[vgprValuA_X4_I0+0+0+0+1], v[36:39]
 // Ci += Ai*Br
/*  mfmaIndex:98  */
v_mfma_f32_16x16x4_f32 v[16+0:19+0], v[vgprValuB_X4_I0+16+0+0+1], v199, v[16:19]
 // Cr += -Ai*Bi
/*  mfmaIndex:99  */
v_mfma_f32_16x16x4_f32 v[36+0:39+0], v[vgprValuB_X4_I0+16+0+0+1], v[vgprValuA_X4_I0+0+0+0], v[36:39]
 // Ci += Ar*Bi


/* iter 5 */

/*  grEndMfmaIndex:4, lwStartMfmaIndex:28, lwEndMfmaIndex:147  */
/*  numMfmaForLR:10, barrierMfmaIndex:149, LocalWritePerMfma:0.110 */
/*  mfmaIndex:100  */
/* sched write - iter 5 writesPerItem=1 */
s_waitcnt vmcnt(0)                                 // lgkmcnt=-1 vmcnt=0wait for global read before writing to local
_ds_store_b128 v[vgprLocalWriteAddrB], v[vgprG2LB+16:vgprG2LB+16+3] offset:17408 // lwoB_0_0_4_0 = (0*LSCB)*(MT1J+PAD) + (4*LSPB) = 17408
v_add_f32 v199, -v[vgprValuA_X5_I0+0+0+0+1], 0     // Ai=-Ai
v_mfma_f32_16x16x4_f32 v[0+0:3+0], v[vgprValuB_X4_I0+0+2+0], v[vgprValuA_X5_I0+0+0+0], v[0:3]
 // Cr += Ar*Br
/*  mfmaIndex:101  */
_buffer_load_b128 v[vgprG2LB+16:vgprG2LB+16+3], v[vgprGlobalReadOffsetB+0], s[sgprSrdB:sgprSrdB+3], s[sgprScalarGlobalReadOffsetB+3], offen offset:0 // G -> Reg 0_0_4_0
v_mfma_f32_16x16x4_f32 v[20+0:23+0], v[vgprValuB_X4_I0+0+2+0], v[vgprValuA_X5_I0+0+0+0+1], v[20:23]
 // Ci += Ai*Br
/*  mfmaIndex:102  */
v_mfma_f32_16x16x4_f32 v[0+0:3+0], v[vgprValuB_X4_I0+0+2+0+1], v199, v[0:3]
 // Cr += -Ai*Bi
/*  mfmaIndex:103  */
v_mfma_f32_16x16x4_f32 v[20+0:23+0], v[vgprValuB_X4_I0+0+2+0+1], v[vgprValuA_X5_I0+0+0+0], v[20:23]
 // Ci += Ar*Bi
/*  mfmaIndex:104  */
v_mfma_f32_16x16x4_f32 v[4+0:7+0], v[vgprValuB_X4_I0+4+2+0], v[vgprValuA_X5_I0+0+0+0], v[4:7]
 // Cr += Ar*Br
/*  mfmaIndex:105  */
v_mfma_f32_16x16x4_f32 v[24+0:27+0], v[vgprValuB_X4_I0+4+2+0], v[vgprValuA_X5_I0+0+0+0+1], v[24:27]
 // Ci += Ai*Br
/*  mfmaIndex:106  */
v_mfma_f32_16x16x4_f32 v[4+0:7+0], v[vgprValuB_X4_I0+4+2+0+1], v199, v[4:7]
 // Cr += -Ai*Bi
/*  mfmaIndex:107  */
v_mfma_f32_16x16x4_f32 v[24+0:27+0], v[vgprValuB_X4_I0+4+2+0+1], v[vgprValuA_X5_I0+0+0+0], v[24:27]
 // Ci += Ar*Bi
/*  mfmaIndex:108  */
v_mfma_f32_16x16x4_f32 v[8+0:11+0], v[vgprValuB_X4_I0+8+2+0], v[vgprValuA_X5_I0+0+0+0], v[8:11]
 // Cr += Ar*Br
/*  mfmaIndex:109  */
/* sched write - iter 5 writesPerItem=1 */
s_waitcnt vmcnt(0)                                 // lgkmcnt=-1 vmcnt=0wait for global read before writing to local
_ds_store_b128 v[vgprLocalWriteAddrB], v[vgprG2LB+20:vgprG2LB+20+3] offset:21760 // lwoB_0_0_5_0 = (0*LSCB)*(MT1J+PAD) + (5*LSPB) = 21760
v_mfma_f32_16x16x4_f32 v[28+0:31+0], v[vgprValuB_X4_I0+8+2+0], v[vgprValuA_X5_I0+0+0+0+1], v[28:31]
 // Ci += Ai*Br
/*  mfmaIndex:110  */
_buffer_load_b128 v[vgprG2LB+20:vgprG2LB+20+3], v[vgprGlobalReadOffsetB+0], s[sgprSrdB:sgprSrdB+3], s[sgprScalarGlobalReadOffsetB+4], offen offset:0 // G -> Reg 0_0_5_0
v_mfma_f32_16x16x4_f32 v[8+0:11+0], v[vgprValuB_X4_I0+8+2+0+1], v199, v[8:11]
 // Cr += -Ai*Bi
/*  mfmaIndex:111  */
v_mfma_f32_16x16x4_f32 v[28+0:31+0], v[vgprValuB_X4_I0+8+2+0+1], v[vgprValuA_X5_I0+0+0+0], v[28:31]
 // Ci += Ar*Bi
/*  mfmaIndex:112  */
v_mfma_f32_16x16x4_f32 v[12+0:15+0], v[vgprValuB_X4_I0+12+2+0], v[vgprValuA_X5_I0+0+0+0], v[12:15]
 // Cr += Ar*Br
/*  mfmaIndex:113  */
v_mfma_f32_16x16x4_f32 v[32+0:35+0], v[vgprValuB_X4_I0+12+2+0], v[vgprValuA_X5_I0+0+0+0+1], v[32:35]
 // Ci += Ai*Br
/*  mfmaIndex:114  */
v_mfma_f32_16x16x4_f32 v[12+0:15+0], v[vgprValuB_X4_I0+12+2+0+1], v199, v[12:15]
 // Cr += -Ai*Bi
/*  mfmaIndex:115  */
v_mfma_f32_16x16x4_f32 v[32+0:35+0], v[vgprValuB_X4_I0+12+2+0+1], v[vgprValuA_X5_I0+0+0+0], v[32:35]
 // Ci += Ar*Bi
/*  mfmaIndex:116  */
v_mfma_f32_16x16x4_f32 v[16+0:19+0], v[vgprValuB_X4_I0+16+2+0], v[vgprValuA_X5_I0+0+0+0], v[16:19]
 // Cr += Ar*Br
/*  mfmaIndex:117  */
v_mfma_f32_16x16x4_f32 v[36+0:39+0], v[vgprValuB_X4_I0+16+2+0], v[vgprValuA_X5_I0+0+0+0+1], v[36:39]
 // Ci += Ai*Br
/*  mfmaIndex:118  */
/* sched write - iter 5 writesPerItem=1 */
s_waitcnt vmcnt(0)                                 // lgkmcnt=-1 vmcnt=0wait for global read before writing to local
_ds_store_b128 v[vgprLocalWriteAddrB], v[vgprG2LB+24:vgprG2LB+24+3] offset:26112 // lwoB_0_0_6_0 = (0*LSCB)*(MT1J+PAD) + (6*LSPB) = 26112
v_mfma_f32_16x16x4_f32 v[16+0:19+0], v[vgprValuB_X4_I0+16+2+0+1], v199, v[16:19]
 // Cr += -Ai*Bi
/*  mfmaIndex:119  */
_buffer_load_b128 v[vgprG2LB+24:vgprG2LB+24+3], v[vgprGlobalReadOffsetB+0], s[sgprSrdB:sgprSrdB+3], s[sgprScalarGlobalReadOffsetB+5], offen offset:0 // G -> Reg 0_0_6_0
v_mfma_f32_16x16x4_f32 v[36+0:39+0], v[vgprValuB_X4_I0+16+2+0+1], v[vgprValuA_X5_I0+0+0+0], v[36:39]
 // Ci += Ar*Bi


/* iter 6 (reset local read pointers iteration)  (swap local read pointers iteration)  */

/*  grEndMfmaIndex:4, lwStartMfmaIndex:28, lwEndMfmaIndex:147  */
/*  numMfmaForLR:10, barrierMfmaIndex:149, LocalWritePerMfma:0.110 */
/*  mfmaIndex:120  */
v_add_f32 v199, -v[vgprValuA_X6_I0+0+0+0+1], 0     // Ai=-Ai
v_mfma_f32_16x16x4_f32 v[0+0:3+0], v[vgprValuB_X6_I0+0+0+0], v[vgprValuA_X6_I0+0+0+0], v[0:3]
 // Cr += Ar*Br
/*  mfmaIndex:121  */
v_mfma_f32_16x16x4_f32 v[20+0:23+0], v[vgprValuB_X6_I0+0+0+0], v[vgprValuA_X6_I0+0+0+0+1], v[20:23]
 // Ci += Ai*Br
/*  mfmaIndex:122  */
v_mfma_f32_16x16x4_f32 v[0+0:3+0], v[vgprValuB_X6_I0+0+0+0+1], v199, v[0:3]
 // Cr += -Ai*Bi
/*  mfmaIndex:123  */
v_mfma_f32_16x16x4_f32 v[20+0:23+0], v[vgprValuB_X6_I0+0+0+0+1], v[vgprValuA_X6_I0+0+0+0], v[20:23]
 // Ci += Ar*Bi
/*  mfmaIndex:124  */
v_mfma_f32_16x16x4_f32 v[4+0:7+0], v[vgprValuB_X6_I0+4+0+0], v[vgprValuA_X6_I0+0+0+0], v[4:7]
 // Cr += Ar*Br
/*  mfmaIndex:125  */
v_mfma_f32_16x16x4_f32 v[24+0:27+0], v[vgprValuB_X6_I0+4+0+0], v[vgprValuA_X6_I0+0+0+0+1], v[24:27]
 // Ci += Ai*Br
/*  mfmaIndex:126  */
v_mfma_f32_16x16x4_f32 v[4+0:7+0], v[vgprValuB_X6_I0+4+0+0+1], v199, v[4:7]
 // Cr += -Ai*Bi
/*  mfmaIndex:127  */
v_mfma_f32_16x16x4_f32 v[24+0:27+0], v[vgprValuB_X6_I0+4+0+0+1], v[vgprValuA_X6_I0+0+0+0], v[24:27]
 // Ci += Ar*Bi
/*  mfmaIndex:128  */
/* sched write - iter 6 writesPerItem=1 */
s_waitcnt vmcnt(0)                                 // lgkmcnt=-1 vmcnt=0wait for global read before writing to local
_ds_store_b128 v[vgprLocalWriteAddrB], v[vgprG2LB+28:vgprG2LB+28+3] offset:30464 // lwoB_0_0_7_0 = (0*LSCB)*(MT1J+PAD) + (7*LSPB) = 30464
v_mfma_f32_16x16x4_f32 v[8+0:11+0], v[vgprValuB_X6_I0+8+0+0], v[vgprValuA_X6_I0+0+0+0], v[8:11]
 // Cr += Ar*Br
/*  mfmaIndex:129  */
_buffer_load_b128 v[vgprG2LB+28:vgprG2LB+28+3], v[vgprGlobalReadOffsetB+0], s[sgprSrdB:sgprSrdB+3], s[sgprScalarGlobalReadOffsetB+6], offen offset:0 // G -> Reg 0_0_7_0
v_mfma_f32_16x16x4_f32 v[28+0:31+0], v[vgprValuB_X6_I0+8+0+0], v[vgprValuA_X6_I0+0+0+0+1], v[28:31]
 // Ci += Ai*Br
/*  mfmaIndex:130  */
v_mfma_f32_16x16x4_f32 v[8+0:11+0], v[vgprValuB_X6_I0+8+0+0+1], v199, v[8:11]
 // Cr += -Ai*Bi
/*  mfmaIndex:131  */
v_mfma_f32_16x16x4_f32 v[28+0:31+0], v[vgprValuB_X6_I0+8+0+0+1], v[vgprValuA_X6_I0+0+0+0], v[28:31]
 // Ci += Ar*Bi
/*  mfmaIndex:132  */
v_mfma_f32_16x16x4_f32 v[12+0:15+0], v[vgprValuB_X6_I0+12+0+0], v[vgprValuA_X6_I0+0+0+0], v[12:15]
 // Cr += Ar*Br
/*  mfmaIndex:133  */
v_mfma_f32_16x16x4_f32 v[32+0:35+0], v[vgprValuB_X6_I0+12+0+0], v[vgprValuA_X6_I0+0+0+0+1], v[32:35]
 // Ci += Ai*Br
/*  mfmaIndex:134  */
v_mfma_f32_16x16x4_f32 v[12+0:15+0], v[vgprValuB_X6_I0+12+0+0+1], v199, v[12:15]
 // Cr += -Ai*Bi
/*  mfmaIndex:135  */
v_mfma_f32_16x16x4_f32 v[32+0:35+0], v[vgprValuB_X6_I0+12+0+0+1], v[vgprValuA_X6_I0+0+0+0], v[32:35]
 // Ci += Ar*Bi
/*  mfmaIndex:136  */
v_mfma_f32_16x16x4_f32 v[16+0:19+0], v[vgprValuB_X6_I0+16+0+0], v[vgprValuA_X6_I0+0+0+0], v[16:19]
 // Cr += Ar*Br
/*  mfmaIndex:137  */
/* sched write - iter 6 writesPerItem=1 */
s_waitcnt vmcnt(0)                                 // lgkmcnt=-1 vmcnt=0wait for global read before writing to local
_ds_store_b128 v[vgprLocalWriteAddrB], v[vgprG2LB+32:vgprG2LB+32+3] offset:34816 // lwoB_0_0_8_0 = (0*LSCB)*(MT1J+PAD) + (8*LSPB) = 34816
v_mfma_f32_16x16x4_f32 v[36+0:39+0], v[vgprValuB_X6_I0+16+0+0], v[vgprValuA_X6_I0+0+0+0+1], v[36:39]
 // Ci += Ai*Br
/*  mfmaIndex:138  */
_buffer_load_b128 v[vgprG2LB+32:vgprG2LB+32+3], v[vgprGlobalReadOffsetB+0], s[sgprSrdB:sgprSrdB+3], s[sgprScalarGlobalReadOffsetB+7], offen offset:0 // G -> Reg 0_0_8_0
v_mfma_f32_16x16x4_f32 v[16+0:19+0], v[vgprValuB_X6_I0+16+0+0+1], v199, v[16:19]
 // Cr += -Ai*Bi
/*  mfmaIndex:139  */

/* local read swap offsets a */

/* local read swap offsets b */

/* local read init pointers a */

/* localReadInitPointers */

/* local read init pointers b */

/* localReadInitPointers */
v_mfma_f32_16x16x4_f32 v[36+0:39+0], v[vgprValuB_X6_I0+16+0+0+1], v[vgprValuA_X6_I0+0+0+0], v[36:39]
 // Ci += Ar*Bi


/* iter 7 (swap and reset local write pointers iteration)  */

/*  grEndMfmaIndex:4, lwStartMfmaIndex:28, lwEndMfmaIndex:147  */
/*  numMfmaForLR:10, barrierMfmaIndex:149, LocalWritePerMfma:0.110 */
/*  mfmaIndex:140  */
v_add_f32 v199, -v[vgprValuA_X7_I0+0+0+0+1], 0     // Ai=-Ai
v_mfma_f32_16x16x4_f32 v[0+0:3+0], v[vgprValuB_X6_I0+0+2+0], v[vgprValuA_X7_I0+0+0+0], v[0:3]
 // Cr += Ar*Br
/*  mfmaIndex:141  */
v_mfma_f32_16x16x4_f32 v[20+0:23+0], v[vgprValuB_X6_I0+0+2+0], v[vgprValuA_X7_I0+0+0+0+1], v[20:23]
 // Ci += Ai*Br
/*  mfmaIndex:142  */
v_mfma_f32_16x16x4_f32 v[0+0:3+0], v[vgprValuB_X6_I0+0+2+0+1], v199, v[0:3]
 // Cr += -Ai*Bi
/*  mfmaIndex:143  */
v_mfma_f32_16x16x4_f32 v[20+0:23+0], v[vgprValuB_X6_I0+0+2+0+1], v[vgprValuA_X7_I0+0+0+0], v[20:23]
 // Ci += Ar*Bi
/*  mfmaIndex:144  */
v_mfma_f32_16x16x4_f32 v[4+0:7+0], v[vgprValuB_X6_I0+4+2+0], v[vgprValuA_X7_I0+0+0+0], v[4:7]
 // Cr += Ar*Br
/*  mfmaIndex:145  */
v_mfma_f32_16x16x4_f32 v[24+0:27+0], v[vgprValuB_X6_I0+4+2+0], v[vgprValuA_X7_I0+0+0+0+1], v[24:27]
 // Ci += Ai*Br
/*  mfmaIndex:146  */
/* sched write - iter 7 writesPerItem=1 */
s_waitcnt vmcnt(0)                                 // lgkmcnt=-1 vmcnt=0wait for global read before writing to local
_ds_store_b128 v[vgprLocalWriteAddrB], v[vgprG2LB+36:vgprG2LB+36+3] offset:39168 // lwoB_0_0_9_0 = (0*LSCB)*(MT1J+PAD) + (9*LSPB) = 39168
v_mfma_f32_16x16x4_f32 v[4+0:7+0], v[vgprValuB_X6_I0+4+2+0+1], v199, v[4:7]
 // Cr += -Ai*Bi
/*  mfmaIndex:147  */
_buffer_load_b128 v[vgprG2LB+36:vgprG2LB+36+3], v[vgprGlobalReadOffsetB+0], s[sgprSrdB:sgprSrdB+3], s[sgprScalarGlobalReadOffsetB+8], offen offset:0 // G -> Reg 0_0_9_0

/* local write swap offsets a */

/* local write swap offsets b */
v_mfma_f32_16x16x4_f32 v[24+0:27+0], v[vgprValuB_X6_I0+4+2+0+1], v[vgprValuA_X7_I0+0+0+0], v[24:27]
 // Ci += Ar*Bi
/*  mfmaIndex:148  */
v_mfma_f32_16x16x4_f32 v[8+0:11+0], v[vgprValuB_X6_I0+8+2+0], v[vgprValuA_X7_I0+0+0+0], v[8:11]
 // Cr += Ar*Br
/*  mfmaIndex:149  */
s_waitcnt lgkmcnt(0)                               // lgkmcnt=0 vmcnt=-13wait for local write
// Skip force waitcnt0
s_barrier //
v_mfma_f32_16x16x4_f32 v[28+0:31+0], v[vgprValuB_X6_I0+8+2+0], v[vgprValuA_X7_I0+0+0+0+1], v[28:31]
 // Ci += Ai*Br
/*  mfmaIndex:150  */
_ds_load_b64 v[vgprValuA_X0_I0+0:vgprValuA_X0_I0+0+1], v[vgprLocalReadAddrA] offset:0 // L -> Reg lro=0 swapByteOffset=0 ti=32 vIdx=0 rIdx=0 oIdx=0 buffer=0 iui=0
v_mfma_f32_16x16x4_f32 v[8+0:11+0], v[vgprValuB_X6_I0+8+2+0+1], v199, v[8:11]
 // Cr += -Ai*Bi
/*  mfmaIndex:151  */
_ds_load_b128 v[vgprValuB_X0_I0+0:vgprValuB_X0_I0+0+3], v[vgprLocalReadAddrB] offset:0 // L -> Reg lro=0 swapByteOffset=0 ti=16 vIdx=0 rIdx=0 oIdx=0 buffer=0 iui=0
v_mfma_f32_16x16x4_f32 v[28+0:31+0], v[vgprValuB_X6_I0+8+2+0+1], v[vgprValuA_X7_I0+0+0+0], v[28:31]
 // Ci += Ar*Bi
/*  mfmaIndex:152  */
_ds_load_b128 v[vgprValuB_X0_I0+4:vgprValuB_X0_I0+4+3], v[vgprLocalReadAddrB] offset:8704 // L -> Reg lro=0 swapByteOffset=0 ti=16 vIdx=1 rIdx=0 oIdx=0 buffer=0 iui=0
v_mfma_f32_16x16x4_f32 v[12+0:15+0], v[vgprValuB_X6_I0+12+2+0], v[vgprValuA_X7_I0+0+0+0], v[12:15]
 // Cr += Ar*Br
/*  mfmaIndex:153  */
_ds_load_b128 v[vgprValuB_X0_I0+8:vgprValuB_X0_I0+8+3], v[vgprLocalReadAddrB] offset:17408 // L -> Reg lro=0 swapByteOffset=0 ti=16 vIdx=2 rIdx=0 oIdx=0 buffer=0 iui=0
v_mfma_f32_16x16x4_f32 v[32+0:35+0], v[vgprValuB_X6_I0+12+2+0], v[vgprValuA_X7_I0+0+0+0+1], v[32:35]
 // Ci += Ai*Br
/*  mfmaIndex:154  */
_ds_load_b128 v[vgprValuB_X0_I0+12:vgprValuB_X0_I0+12+3], v[vgprLocalReadAddrB] offset:26112 // L -> Reg lro=0 swapByteOffset=0 ti=16 vIdx=3 rIdx=0 oIdx=0 buffer=0 iui=0
v_mfma_f32_16x16x4_f32 v[12+0:15+0], v[vgprValuB_X6_I0+12+2+0+1], v199, v[12:15]
 // Cr += -Ai*Bi
/*  mfmaIndex:155  */
_ds_load_b128 v[vgprValuB_X0_I0+16:vgprValuB_X0_I0+16+3], v[vgprLocalReadAddrB] offset:34816 // L -> Reg lro=0 swapByteOffset=0 ti=16 vIdx=4 rIdx=0 oIdx=0 buffer=0 iui=0
v_mfma_f32_16x16x4_f32 v[32+0:35+0], v[vgprValuB_X6_I0+12+2+0+1], v[vgprValuA_X7_I0+0+0+0], v[32:35]
 // Ci += Ar*Bi
/*  mfmaIndex:156  */
v_mfma_f32_16x16x4_f32 v[16+0:19+0], v[vgprValuB_X6_I0+16+2+0], v[vgprValuA_X7_I0+0+0+0], v[16:19]
 // Cr += Ar*Br
/*  mfmaIndex:157  */
v_mfma_f32_16x16x4_f32 v[36+0:39+0], v[vgprValuB_X6_I0+16+2+0], v[vgprValuA_X7_I0+0+0+0+1], v[36:39]
 // Ci += Ai*Br
/*  mfmaIndex:158  */
v_mfma_f32_16x16x4_f32 v[16+0:19+0], v[vgprValuB_X6_I0+16+2+0+1], v199, v[16:19]
 // Cr += -Ai*Bi
/*  mfmaIndex:159  */
v_mfma_f32_16x16x4_f32 v[36+0:39+0], v[vgprValuB_X6_I0+16+2+0+1], v[vgprValuA_X7_I0+0+0+0], v[36:39]
 // Ci += Ar*Bi


/******************************************/
/* Unrolled Loop - End 1/2                */
/******************************************/


/* closeLoop loopL finalLoop=0 tailLoop=0 */
s_sub_u32 s[sgprLoopCounterL], s[sgprLoopCounterL], 1 // dec counterL
s_cmp_eq_i32 s[sgprLoopCounterL], 0x2              // counterL==2
s_cbranch_scc1 LoopEndL_oddexit_3                  // exit LoopL


/******************************************/
/* Unrolled Loop 2/2 - Begin              */
/******************************************/

label_0016: // LoopCopy2 


/* Begin Each Unroll: Check VGPR.checkin for INT8 LW */


	;; [unrolled: 1-line block ×3, first 2 shown]
/* iter 0 */

/*  grEndMfmaIndex:4, lwStartMfmaIndex:28, lwEndMfmaIndex:147  */
/*  numMfmaForLR:10, barrierMfmaIndex:149, LocalWritePerMfma:0.110 */
/*  mfmaIndex:0  */
s_waitcnt lgkmcnt(0)                               // lgkmcnt=0 vmcnt=-1wait for prior local read local write old=0, new=0 newLW=0 newLR=0
v_add_f32 v199, -v[vgprValuA_X0_I0+0+0+0+1], 0     // Ai=-Ai
v_mfma_f32_16x16x4_f32 v[0+0:3+0], v[vgprValuB_X0_I0+0+0+0], v[vgprValuA_X0_I0+0+0+0], v[0:3]
 // Cr += Ar*Br
/*  mfmaIndex:1  */
_ds_load_b64 v[vgprValuA_X1_I0+0:vgprValuA_X1_I0+0+1], v[vgprLocalReadAddrA] offset:256 // L -> Reg lro=32 swapByteOffset=0 ti=32 vIdx=0 rIdx=0 oIdx=0 buffer=1 iui=0

/* global read inc A loopL */
s_add_u32 s[sgprSrdA+0], s[sgprSrdA+0], s[sgprGlobalReadIncsA+0] // gra SRD += inc(lower)
s_addc_u32  s[sgprSrdA+1], s[sgprSrdA+1], 0        // gra SRD += inc(upper)
s_sub_u32 s[sgprShadowLimitA+0], s[sgprShadowLimitA+0], s[sgprGlobalReadIncsA+0] // limit -= inc)
v_mfma_f32_16x16x4_f32 v[20+0:23+0], v[vgprValuB_X0_I0+0+0+0], v[vgprValuA_X0_I0+0+0+0+1], v[20:23]
 // Ci += Ai*Br
/*  mfmaIndex:2  */
_ds_load_b128 v[vgprValuB_X2_I0+0:vgprValuB_X2_I0+0+3], v[vgprLocalReadAddrB] offset:128 // L -> Reg lro=16 swapByteOffset=0 ti=16 vIdx=0 rIdx=0 oIdx=0 buffer=2 iui=0
s_subb_u32 s[sgprShadowLimitA+1], s[sgprShadowLimitA+1], 0 // limit -= inc)
s_cmp_eq_u32 s[sgprShadowLimitA+1], 0              // are we within 2^32?
s_cmov_b32 s[sgprSrdA+2], s[sgprShadowLimitA+0]    // Move shadow to real if we are within 2^32
v_mfma_f32_16x16x4_f32 v[0+0:3+0], v[vgprValuB_X0_I0+0+0+0+1], v199, v[0:3]
 // Cr += -Ai*Bi
/*  mfmaIndex:3  */
_ds_load_b128 v[vgprValuB_X2_I0+4:vgprValuB_X2_I0+4+3], v[vgprLocalReadAddrB] offset:8832 // L -> Reg lro=16 swapByteOffset=0 ti=16 vIdx=1 rIdx=0 oIdx=0 buffer=2 iui=0

/* global read inc B loopL */
s_add_u32 s[sgprSrdB+0], s[sgprSrdB+0], s[sgprGlobalReadIncsB+0] // gra SRD += inc(lower)
s_addc_u32  s[sgprSrdB+1], s[sgprSrdB+1], 0        // gra SRD += inc(upper)
s_sub_u32 s[sgprShadowLimitB+0], s[sgprShadowLimitB+0], s[sgprGlobalReadIncsB+0] // limit -= inc)
v_mfma_f32_16x16x4_f32 v[20+0:23+0], v[vgprValuB_X0_I0+0+0+0+1], v[vgprValuA_X0_I0+0+0+0], v[20:23]
 // Ci += Ar*Bi
/*  mfmaIndex:4  */
_ds_load_b128 v[vgprValuB_X2_I0+8:vgprValuB_X2_I0+8+3], v[vgprLocalReadAddrB] offset:17536 // L -> Reg lro=16 swapByteOffset=0 ti=16 vIdx=2 rIdx=0 oIdx=0 buffer=2 iui=0
s_subb_u32 s[sgprShadowLimitB+1], s[sgprShadowLimitB+1], 0 // limit -= inc)
s_cmp_eq_u32 s[sgprShadowLimitB+1], 0              // are we within 2^32?
s_cmov_b32 s[sgprSrdB+2], s[sgprShadowLimitB+0]    // Move shadow to real if we are within 2^32
v_mfma_f32_16x16x4_f32 v[4+0:7+0], v[vgprValuB_X0_I0+4+0+0], v[vgprValuA_X0_I0+0+0+0], v[4:7]
 // Cr += Ar*Br
/*  mfmaIndex:5  */
_ds_load_b128 v[vgprValuB_X2_I0+12:vgprValuB_X2_I0+12+3], v[vgprLocalReadAddrB] offset:26240 // L -> Reg lro=16 swapByteOffset=0 ti=16 vIdx=3 rIdx=0 oIdx=0 buffer=2 iui=0
v_mfma_f32_16x16x4_f32 v[24+0:27+0], v[vgprValuB_X0_I0+4+0+0], v[vgprValuA_X0_I0+0+0+0+1], v[24:27]
 // Ci += Ai*Br
/*  mfmaIndex:6  */
_ds_load_b128 v[vgprValuB_X2_I0+16:vgprValuB_X2_I0+16+3], v[vgprLocalReadAddrB] offset:34944 // L -> Reg lro=16 swapByteOffset=0 ti=16 vIdx=4 rIdx=0 oIdx=0 buffer=2 iui=0
/* localReadsVacancy: latencyLeft 1 */
v_mfma_f32_16x16x4_f32 v[4+0:7+0], v[vgprValuB_X0_I0+4+0+0+1], v199, v[4:7]
 // Cr += -Ai*Bi
/*  mfmaIndex:7  */
/* localReadsVacancy: latencyLeft 5 */
_ds_load_b64 v[vgprValuA_X2_I0+0:vgprValuA_X2_I0+0+1], v[vgprLocalReadAddrA] offset:4096 // L -> Reg lro=512 swapByteOffset=0 ti=32 vIdx=0 rIdx=0 oIdx=0 buffer=2 iui=0
v_mfma_f32_16x16x4_f32 v[24+0:27+0], v[vgprValuB_X0_I0+4+0+0+1], v[vgprValuA_X0_I0+0+0+0], v[24:27]
 // Ci += Ar*Bi
/*  mfmaIndex:8  */
/* localReadsVacancy: latencyLeft 5 */
_ds_load_b128 v[vgprValuB_X4_I0+0:vgprValuB_X4_I0+0+3], v[vgprLocalReadAddrB] offset:256 // L -> Reg lro=32 swapByteOffset=0 ti=16 vIdx=0 rIdx=0 oIdx=0 buffer=4 iui=0
v_mfma_f32_16x16x4_f32 v[8+0:11+0], v[vgprValuB_X0_I0+8+0+0], v[vgprValuA_X0_I0+0+0+0], v[8:11]
 // Cr += Ar*Br
/*  mfmaIndex:9  */
/* localReadsVacancy: latencyLeft 5 */
_ds_load_b128 v[vgprValuB_X4_I0+4:vgprValuB_X4_I0+4+3], v[vgprLocalReadAddrB] offset:8960 // L -> Reg lro=32 swapByteOffset=0 ti=16 vIdx=1 rIdx=0 oIdx=0 buffer=4 iui=0
v_mfma_f32_16x16x4_f32 v[28+0:31+0], v[vgprValuB_X0_I0+8+0+0], v[vgprValuA_X0_I0+0+0+0+1], v[28:31]
 // Ci += Ai*Br
/*  mfmaIndex:10  */
/* localReadsVacancy: latencyLeft 5 */
_ds_load_b128 v[vgprValuB_X4_I0+8:vgprValuB_X4_I0+8+3], v[vgprLocalReadAddrB] offset:17664 // L -> Reg lro=32 swapByteOffset=0 ti=16 vIdx=2 rIdx=0 oIdx=0 buffer=4 iui=0
v_mfma_f32_16x16x4_f32 v[8+0:11+0], v[vgprValuB_X0_I0+8+0+0+1], v199, v[8:11]
 // Cr += -Ai*Bi
/*  mfmaIndex:11  */
/* localReadsVacancy: latencyLeft 5 */
_ds_load_b128 v[vgprValuB_X4_I0+12:vgprValuB_X4_I0+12+3], v[vgprLocalReadAddrB] offset:26368 // L -> Reg lro=32 swapByteOffset=0 ti=16 vIdx=3 rIdx=0 oIdx=0 buffer=4 iui=0
v_mfma_f32_16x16x4_f32 v[28+0:31+0], v[vgprValuB_X0_I0+8+0+0+1], v[vgprValuA_X0_I0+0+0+0], v[28:31]
 // Ci += Ar*Bi
/*  mfmaIndex:12  */
/* localReadsVacancy: latencyLeft 5 */
_ds_load_b128 v[vgprValuB_X4_I0+16:vgprValuB_X4_I0+16+3], v[vgprLocalReadAddrB] offset:35072 // L -> Reg lro=32 swapByteOffset=0 ti=16 vIdx=4 rIdx=0 oIdx=0 buffer=4 iui=0
v_mfma_f32_16x16x4_f32 v[12+0:15+0], v[vgprValuB_X0_I0+12+0+0], v[vgprValuA_X0_I0+0+0+0], v[12:15]
 // Cr += Ar*Br
/*  mfmaIndex:13  */
/* localReadsVacancy: latencyLeft 5 */
_ds_load_b64 v[vgprValuA_X3_I0+0:vgprValuA_X3_I0+0+1], v[vgprLocalReadAddrA] offset:4352 // L -> Reg lro=544 swapByteOffset=0 ti=32 vIdx=0 rIdx=0 oIdx=0 buffer=3 iui=0
v_mfma_f32_16x16x4_f32 v[32+0:35+0], v[vgprValuB_X0_I0+12+0+0], v[vgprValuA_X0_I0+0+0+0+1], v[32:35]
 // Ci += Ai*Br
/*  mfmaIndex:14  */
/* localReadsVacancy: latencyLeft 5 */
_ds_load_b128 v[vgprValuB_X6_I0+0:vgprValuB_X6_I0+0+3], v[vgprLocalReadAddrB] offset:384 // L -> Reg lro=48 swapByteOffset=0 ti=16 vIdx=0 rIdx=0 oIdx=0 buffer=6 iui=0
v_mfma_f32_16x16x4_f32 v[12+0:15+0], v[vgprValuB_X0_I0+12+0+0+1], v199, v[12:15]
 // Cr += -Ai*Bi
/*  mfmaIndex:15  */
/* localReadsVacancy: latencyLeft 5 */
_ds_load_b128 v[vgprValuB_X6_I0+4:vgprValuB_X6_I0+4+3], v[vgprLocalReadAddrB] offset:9088 // L -> Reg lro=48 swapByteOffset=0 ti=16 vIdx=1 rIdx=0 oIdx=0 buffer=6 iui=0
v_mfma_f32_16x16x4_f32 v[32+0:35+0], v[vgprValuB_X0_I0+12+0+0+1], v[vgprValuA_X0_I0+0+0+0], v[32:35]
 // Ci += Ar*Bi
/*  mfmaIndex:16  */
/* localReadsVacancy: latencyLeft 5 */
_ds_load_b128 v[vgprValuB_X6_I0+8:vgprValuB_X6_I0+8+3], v[vgprLocalReadAddrB] offset:17792 // L -> Reg lro=48 swapByteOffset=0 ti=16 vIdx=2 rIdx=0 oIdx=0 buffer=6 iui=0
v_mfma_f32_16x16x4_f32 v[16+0:19+0], v[vgprValuB_X0_I0+16+0+0], v[vgprValuA_X0_I0+0+0+0], v[16:19]
 // Cr += Ar*Br
/*  mfmaIndex:17  */
/* localReadsVacancy: latencyLeft 5 */
_ds_load_b128 v[vgprValuB_X6_I0+12:vgprValuB_X6_I0+12+3], v[vgprLocalReadAddrB] offset:26496 // L -> Reg lro=48 swapByteOffset=0 ti=16 vIdx=3 rIdx=0 oIdx=0 buffer=6 iui=0
v_mfma_f32_16x16x4_f32 v[36+0:39+0], v[vgprValuB_X0_I0+16+0+0], v[vgprValuA_X0_I0+0+0+0+1], v[36:39]
 // Ci += Ai*Br
/*  mfmaIndex:18  */
/* localReadsVacancy: latencyLeft 5 */
_ds_load_b128 v[vgprValuB_X6_I0+16:vgprValuB_X6_I0+16+3], v[vgprLocalReadAddrB] offset:35200 // L -> Reg lro=48 swapByteOffset=0 ti=16 vIdx=4 rIdx=0 oIdx=0 buffer=6 iui=0
v_mfma_f32_16x16x4_f32 v[16+0:19+0], v[vgprValuB_X0_I0+16+0+0+1], v199, v[16:19]
 // Cr += -Ai*Bi
/*  mfmaIndex:19  */
/* localReadsVacancy: latencyLeft 5 */
_ds_load_b64 v[vgprValuA_X4_I0+0:vgprValuA_X4_I0+0+1], v[vgprLocalReadAddrA] offset:8192 // L -> Reg lro=1024 swapByteOffset=0 ti=32 vIdx=0 rIdx=0 oIdx=0 buffer=4 iui=0
_ds_load_b64 v[vgprValuA_X5_I0+0:vgprValuA_X5_I0+0+1], v[vgprLocalReadAddrA] offset:8448 // L -> Reg lro=1056 swapByteOffset=0 ti=32 vIdx=0 rIdx=0 oIdx=0 buffer=5 iui=0
v_mfma_f32_16x16x4_f32 v[36+0:39+0], v[vgprValuB_X0_I0+16+0+0+1], v[vgprValuA_X0_I0+0+0+0], v[36:39]
 // Ci += Ar*Bi
/* numPrefetchIter=0 */
/* dataAtIterA=-1 numReadsIterA=1 skipReadsIterA=1 readsPerIterA=1 */
/* dataAtIterB=-1 numReadsIterB=1 skipReadsIterB=1 readsPerIterB=5 */


/* iter 1 */

/*  grEndMfmaIndex:4, lwStartMfmaIndex:28, lwEndMfmaIndex:147  */
/*  numMfmaForLR:10, barrierMfmaIndex:149, LocalWritePerMfma:0.110 */
/*  mfmaIndex:20  */
/* localReadsVacancy: latencyLeft 5 */
_ds_load_b64 v[vgprValuA_X6_I0+0:vgprValuA_X6_I0+0+1], v[vgprLocalReadAddrA] offset:12288 // L -> Reg lro=1536 swapByteOffset=0 ti=32 vIdx=0 rIdx=0 oIdx=0 buffer=6 iui=0
_ds_load_b64 v[vgprValuA_X7_I0+0:vgprValuA_X7_I0+0+1], v[vgprLocalReadAddrA] offset:12544 // L -> Reg lro=1568 swapByteOffset=0 ti=32 vIdx=0 rIdx=0 oIdx=0 buffer=7 iui=0
s_waitcnt lgkmcnt(15)                              // lgkmcnt=0 vmcnt=-1wait for prior local read local write old=6, new=6 newLW=0 newLR=0
v_add_f32 v199, -v[vgprValuA_X1_I0+0+0+0+1], 0     // Ai=-Ai
v_mfma_f32_16x16x4_f32 v[0+0:3+0], v[vgprValuB_X0_I0+0+2+0], v[vgprValuA_X1_I0+0+0+0], v[0:3]
 // Cr += Ar*Br
/*  mfmaIndex:21  */
/* localReadsVacancy: latencyLeft 5 */
v_mfma_f32_16x16x4_f32 v[20+0:23+0], v[vgprValuB_X0_I0+0+2+0], v[vgprValuA_X1_I0+0+0+0+1], v[20:23]
 // Ci += Ai*Br
/*  mfmaIndex:22  */
/* localReadsVacancy: latencyLeft 5 */
v_mfma_f32_16x16x4_f32 v[0+0:3+0], v[vgprValuB_X0_I0+0+2+0+1], v199, v[0:3]
 // Cr += -Ai*Bi
/*  mfmaIndex:23  */
/* localReadsVacancy: latencyLeft 5 */
v_mfma_f32_16x16x4_f32 v[20+0:23+0], v[vgprValuB_X0_I0+0+2+0+1], v[vgprValuA_X1_I0+0+0+0], v[20:23]
 // Ci += Ar*Bi
/*  mfmaIndex:24  */
/* localReadsVacancy: latencyLeft 5 */
v_mfma_f32_16x16x4_f32 v[4+0:7+0], v[vgprValuB_X0_I0+4+2+0], v[vgprValuA_X1_I0+0+0+0], v[4:7]
 // Cr += Ar*Br
/*  mfmaIndex:25  */
/* localReadsVacancy: latencyLeft 5 */
v_mfma_f32_16x16x4_f32 v[24+0:27+0], v[vgprValuB_X0_I0+4+2+0], v[vgprValuA_X1_I0+0+0+0+1], v[24:27]
 // Ci += Ai*Br
/*  mfmaIndex:26  */
/* localReadsVacancy: latencyLeft 5 */
v_mfma_f32_16x16x4_f32 v[4+0:7+0], v[vgprValuB_X0_I0+4+2+0+1], v199, v[4:7]
 // Cr += -Ai*Bi
/*  mfmaIndex:27  */
/* localReadsVacancy: latencyLeft 5 */
/* 1 LDS buffer: read-sync-write */
s_waitcnt lgkmcnt(0)                               // 
s_barrier                                          // 
v_mfma_f32_16x16x4_f32 v[24+0:27+0], v[vgprValuB_X0_I0+4+2+0+1], v[vgprValuA_X1_I0+0+0+0], v[24:27]
 // Ci += Ar*Bi
/*  mfmaIndex:28  */
/* sched write - iter 1 writesPerItem=1 */
s_waitcnt vmcnt(0)                                 // lgkmcnt=-1 vmcnt=0wait for global read before writing to local
_ds_store_b128 v[vgprLocalWriteAddrA], v[vgprG2LA+0:vgprG2LA+0+3] offset:0 // lwoA_0_0_0_0 = (0*LSCA) + (0*LSPA)(*MT0I+PAD) = 0
v_mfma_f32_16x16x4_f32 v[8+0:11+0], v[vgprValuB_X0_I0+8+2+0], v[vgprValuA_X1_I0+0+0+0], v[8:11]
 // Cr += Ar*Br
/*  mfmaIndex:29  */
_buffer_load_b128 v[vgprG2LA+0:vgprG2LA+0+3], v[vgprGlobalReadOffsetA+0], s[sgprSrdA:sgprSrdA+3], 0, offen offset:0 // G -> Reg 0_0_0_0
v_mfma_f32_16x16x4_f32 v[28+0:31+0], v[vgprValuB_X0_I0+8+2+0], v[vgprValuA_X1_I0+0+0+0+1], v[28:31]
 // Ci += Ai*Br
/*  mfmaIndex:30  */
v_mfma_f32_16x16x4_f32 v[8+0:11+0], v[vgprValuB_X0_I0+8+2+0+1], v199, v[8:11]
 // Cr += -Ai*Bi
/*  mfmaIndex:31  */
v_mfma_f32_16x16x4_f32 v[28+0:31+0], v[vgprValuB_X0_I0+8+2+0+1], v[vgprValuA_X1_I0+0+0+0], v[28:31]
 // Ci += Ar*Bi
/*  mfmaIndex:32  */
v_mfma_f32_16x16x4_f32 v[12+0:15+0], v[vgprValuB_X0_I0+12+2+0], v[vgprValuA_X1_I0+0+0+0], v[12:15]
 // Cr += Ar*Br
/*  mfmaIndex:33  */
v_mfma_f32_16x16x4_f32 v[32+0:35+0], v[vgprValuB_X0_I0+12+2+0], v[vgprValuA_X1_I0+0+0+0+1], v[32:35]
 // Ci += Ai*Br
/*  mfmaIndex:34  */
v_mfma_f32_16x16x4_f32 v[12+0:15+0], v[vgprValuB_X0_I0+12+2+0+1], v199, v[12:15]
 // Cr += -Ai*Bi
/*  mfmaIndex:35  */
v_mfma_f32_16x16x4_f32 v[32+0:35+0], v[vgprValuB_X0_I0+12+2+0+1], v[vgprValuA_X1_I0+0+0+0], v[32:35]
 // Ci += Ar*Bi
/*  mfmaIndex:36  */
v_mfma_f32_16x16x4_f32 v[16+0:19+0], v[vgprValuB_X0_I0+16+2+0], v[vgprValuA_X1_I0+0+0+0], v[16:19]
 // Cr += Ar*Br
/*  mfmaIndex:37  */
/* sched write - iter 1 writesPerItem=1 */
s_waitcnt vmcnt(0)                                 // lgkmcnt=-1 vmcnt=0wait for global read before writing to local
_ds_store_b128 v[vgprLocalWriteAddrA], v[vgprG2LA+4:vgprG2LA+4+3] offset:4096 // lwoA_0_0_1_0 = (0*LSCA) + (1*LSPA)(*MT0I+PAD) = 4096
v_mfma_f32_16x16x4_f32 v[36+0:39+0], v[vgprValuB_X0_I0+16+2+0], v[vgprValuA_X1_I0+0+0+0+1], v[36:39]
 // Ci += Ai*Br
/*  mfmaIndex:38  */
_buffer_load_b128 v[vgprG2LA+4:vgprG2LA+4+3], v[vgprGlobalReadOffsetA+0], s[sgprSrdA:sgprSrdA+3], s[sgprScalarGlobalReadOffsetA+0], offen offset:0 // G -> Reg 0_0_1_0
v_mfma_f32_16x16x4_f32 v[16+0:19+0], v[vgprValuB_X0_I0+16+2+0+1], v199, v[16:19]
 // Cr += -Ai*Bi
/*  mfmaIndex:39  */
v_mfma_f32_16x16x4_f32 v[36+0:39+0], v[vgprValuB_X0_I0+16+2+0+1], v[vgprValuA_X1_I0+0+0+0], v[36:39]
 // Ci += Ar*Bi
/* numPrefetchIter=0 */
/* dataAtIterA=0 numReadsIterA=2 skipReadsIterA=1 readsPerIterA=1 */
/* dataAtIterB=-1 numReadsIterB=2 skipReadsIterB=0 readsPerIterB=5 */


/* iter 2 */

/*  grEndMfmaIndex:4, lwStartMfmaIndex:28, lwEndMfmaIndex:147  */
/*  numMfmaForLR:10, barrierMfmaIndex:149, LocalWritePerMfma:0.110 */
/*  mfmaIndex:40  */
v_add_f32 v199, -v[vgprValuA_X2_I0+0+0+0+1], 0     // Ai=-Ai
v_mfma_f32_16x16x4_f32 v[0+0:3+0], v[vgprValuB_X2_I0+0+0+0], v[vgprValuA_X2_I0+0+0+0], v[0:3]
 // Cr += Ar*Br
/*  mfmaIndex:41  */
v_mfma_f32_16x16x4_f32 v[20+0:23+0], v[vgprValuB_X2_I0+0+0+0], v[vgprValuA_X2_I0+0+0+0+1], v[20:23]
 // Ci += Ai*Br
/*  mfmaIndex:42  */
v_mfma_f32_16x16x4_f32 v[0+0:3+0], v[vgprValuB_X2_I0+0+0+0+1], v199, v[0:3]
 // Cr += -Ai*Bi
/*  mfmaIndex:43  */
v_mfma_f32_16x16x4_f32 v[20+0:23+0], v[vgprValuB_X2_I0+0+0+0+1], v[vgprValuA_X2_I0+0+0+0], v[20:23]
 // Ci += Ar*Bi
/*  mfmaIndex:44  */
v_mfma_f32_16x16x4_f32 v[4+0:7+0], v[vgprValuB_X2_I0+4+0+0], v[vgprValuA_X2_I0+0+0+0], v[4:7]
 // Cr += Ar*Br
/*  mfmaIndex:45  */
v_mfma_f32_16x16x4_f32 v[24+0:27+0], v[vgprValuB_X2_I0+4+0+0], v[vgprValuA_X2_I0+0+0+0+1], v[24:27]
 // Ci += Ai*Br
/*  mfmaIndex:46  */
/* sched write - iter 2 writesPerItem=1 */
s_waitcnt vmcnt(0)                                 // lgkmcnt=-1 vmcnt=0wait for global read before writing to local
_ds_store_b128 v[vgprLocalWriteAddrA], v[vgprG2LA+8:vgprG2LA+8+3] offset:8192 // lwoA_0_0_2_0 = (0*LSCA) + (2*LSPA)(*MT0I+PAD) = 8192
v_mfma_f32_16x16x4_f32 v[4+0:7+0], v[vgprValuB_X2_I0+4+0+0+1], v199, v[4:7]
 // Cr += -Ai*Bi
/*  mfmaIndex:47  */
_buffer_load_b128 v[vgprG2LA+8:vgprG2LA+8+3], v[vgprGlobalReadOffsetA+0], s[sgprSrdA:sgprSrdA+3], s[sgprScalarGlobalReadOffsetA+1], offen offset:0 // G -> Reg 0_0_2_0
v_mfma_f32_16x16x4_f32 v[24+0:27+0], v[vgprValuB_X2_I0+4+0+0+1], v[vgprValuA_X2_I0+0+0+0], v[24:27]
 // Ci += Ar*Bi
/*  mfmaIndex:48  */
v_mfma_f32_16x16x4_f32 v[8+0:11+0], v[vgprValuB_X2_I0+8+0+0], v[vgprValuA_X2_I0+0+0+0], v[8:11]
 // Cr += Ar*Br
/*  mfmaIndex:49  */
v_mfma_f32_16x16x4_f32 v[28+0:31+0], v[vgprValuB_X2_I0+8+0+0], v[vgprValuA_X2_I0+0+0+0+1], v[28:31]
 // Ci += Ai*Br
/*  mfmaIndex:50  */
v_mfma_f32_16x16x4_f32 v[8+0:11+0], v[vgprValuB_X2_I0+8+0+0+1], v199, v[8:11]
 // Cr += -Ai*Bi
/*  mfmaIndex:51  */
v_mfma_f32_16x16x4_f32 v[28+0:31+0], v[vgprValuB_X2_I0+8+0+0+1], v[vgprValuA_X2_I0+0+0+0], v[28:31]
 // Ci += Ar*Bi
/*  mfmaIndex:52  */
v_mfma_f32_16x16x4_f32 v[12+0:15+0], v[vgprValuB_X2_I0+12+0+0], v[vgprValuA_X2_I0+0+0+0], v[12:15]
 // Cr += Ar*Br
/*  mfmaIndex:53  */
v_mfma_f32_16x16x4_f32 v[32+0:35+0], v[vgprValuB_X2_I0+12+0+0], v[vgprValuA_X2_I0+0+0+0+1], v[32:35]
 // Ci += Ai*Br
/*  mfmaIndex:54  */
v_mfma_f32_16x16x4_f32 v[12+0:15+0], v[vgprValuB_X2_I0+12+0+0+1], v199, v[12:15]
 // Cr += -Ai*Bi
/*  mfmaIndex:55  */
/* sched write - iter 2 writesPerItem=1 */
s_waitcnt vmcnt(0)                                 // lgkmcnt=-1 vmcnt=0wait for global read before writing to local
_ds_store_b128 v[vgprLocalWriteAddrA], v[vgprG2LA+12:vgprG2LA+12+3] offset:12288 // lwoA_0_0_3_0 = (0*LSCA) + (3*LSPA)(*MT0I+PAD) = 12288
v_mfma_f32_16x16x4_f32 v[32+0:35+0], v[vgprValuB_X2_I0+12+0+0+1], v[vgprValuA_X2_I0+0+0+0], v[32:35]
 // Ci += Ar*Bi
/*  mfmaIndex:56  */
_buffer_load_b128 v[vgprG2LA+12:vgprG2LA+12+3], v[vgprGlobalReadOffsetA+0], s[sgprSrdA:sgprSrdA+3], s[sgprScalarGlobalReadOffsetA+2], offen offset:0 // G -> Reg 0_0_3_0
v_mfma_f32_16x16x4_f32 v[16+0:19+0], v[vgprValuB_X2_I0+16+0+0], v[vgprValuA_X2_I0+0+0+0], v[16:19]
 // Cr += Ar*Br
/*  mfmaIndex:57  */
v_mfma_f32_16x16x4_f32 v[36+0:39+0], v[vgprValuB_X2_I0+16+0+0], v[vgprValuA_X2_I0+0+0+0+1], v[36:39]
 // Ci += Ai*Br
/*  mfmaIndex:58  */
v_mfma_f32_16x16x4_f32 v[16+0:19+0], v[vgprValuB_X2_I0+16+0+0+1], v199, v[16:19]
 // Cr += -Ai*Bi
/*  mfmaIndex:59  */
v_mfma_f32_16x16x4_f32 v[36+0:39+0], v[vgprValuB_X2_I0+16+0+0+1], v[vgprValuA_X2_I0+0+0+0], v[36:39]
 // Ci += Ar*Bi


/* iter 3 */

/*  grEndMfmaIndex:4, lwStartMfmaIndex:28, lwEndMfmaIndex:147  */
/*  numMfmaForLR:10, barrierMfmaIndex:149, LocalWritePerMfma:0.110 */
/*  mfmaIndex:60  */
v_add_f32 v199, -v[vgprValuA_X3_I0+0+0+0+1], 0     // Ai=-Ai
v_mfma_f32_16x16x4_f32 v[0+0:3+0], v[vgprValuB_X2_I0+0+2+0], v[vgprValuA_X3_I0+0+0+0], v[0:3]
 // Cr += Ar*Br
/*  mfmaIndex:61  */
v_mfma_f32_16x16x4_f32 v[20+0:23+0], v[vgprValuB_X2_I0+0+2+0], v[vgprValuA_X3_I0+0+0+0+1], v[20:23]
 // Ci += Ai*Br
/*  mfmaIndex:62  */
v_mfma_f32_16x16x4_f32 v[0+0:3+0], v[vgprValuB_X2_I0+0+2+0+1], v199, v[0:3]
 // Cr += -Ai*Bi
/*  mfmaIndex:63  */
v_mfma_f32_16x16x4_f32 v[20+0:23+0], v[vgprValuB_X2_I0+0+2+0+1], v[vgprValuA_X3_I0+0+0+0], v[20:23]
 // Ci += Ar*Bi
/*  mfmaIndex:64  */
/* sched write - iter 3 writesPerItem=1 */
s_waitcnt vmcnt(0)                                 // lgkmcnt=-1 vmcnt=0wait for global read before writing to local
_ds_store_b128 v[vgprLocalWriteAddrB], v[vgprG2LB+0:vgprG2LB+0+3] offset:0 // lwoB_0_0_0_0 = (0*LSCB)*(MT1J+PAD) + (0*LSPB) = 0
v_mfma_f32_16x16x4_f32 v[4+0:7+0], v[vgprValuB_X2_I0+4+2+0], v[vgprValuA_X3_I0+0+0+0], v[4:7]
 // Cr += Ar*Br
/*  mfmaIndex:65  */
_buffer_load_b128 v[vgprG2LB+0:vgprG2LB+0+3], v[vgprGlobalReadOffsetB+0], s[sgprSrdB:sgprSrdB+3], 0, offen offset:0 // G -> Reg 0_0_0_0
v_mfma_f32_16x16x4_f32 v[24+0:27+0], v[vgprValuB_X2_I0+4+2+0], v[vgprValuA_X3_I0+0+0+0+1], v[24:27]
 // Ci += Ai*Br
/*  mfmaIndex:66  */
v_mfma_f32_16x16x4_f32 v[4+0:7+0], v[vgprValuB_X2_I0+4+2+0+1], v199, v[4:7]
 // Cr += -Ai*Bi
/*  mfmaIndex:67  */
v_mfma_f32_16x16x4_f32 v[24+0:27+0], v[vgprValuB_X2_I0+4+2+0+1], v[vgprValuA_X3_I0+0+0+0], v[24:27]
 // Ci += Ar*Bi
/*  mfmaIndex:68  */
v_mfma_f32_16x16x4_f32 v[8+0:11+0], v[vgprValuB_X2_I0+8+2+0], v[vgprValuA_X3_I0+0+0+0], v[8:11]
 // Cr += Ar*Br
/*  mfmaIndex:69  */
v_mfma_f32_16x16x4_f32 v[28+0:31+0], v[vgprValuB_X2_I0+8+2+0], v[vgprValuA_X3_I0+0+0+0+1], v[28:31]
 // Ci += Ai*Br
/*  mfmaIndex:70  */
v_mfma_f32_16x16x4_f32 v[8+0:11+0], v[vgprValuB_X2_I0+8+2+0+1], v199, v[8:11]
 // Cr += -Ai*Bi
/*  mfmaIndex:71  */
v_mfma_f32_16x16x4_f32 v[28+0:31+0], v[vgprValuB_X2_I0+8+2+0+1], v[vgprValuA_X3_I0+0+0+0], v[28:31]
 // Ci += Ar*Bi
/*  mfmaIndex:72  */
v_mfma_f32_16x16x4_f32 v[12+0:15+0], v[vgprValuB_X2_I0+12+2+0], v[vgprValuA_X3_I0+0+0+0], v[12:15]
 // Cr += Ar*Br
/*  mfmaIndex:73  */
/* sched write - iter 3 writesPerItem=1 */
s_waitcnt vmcnt(0)                                 // lgkmcnt=-1 vmcnt=0wait for global read before writing to local
_ds_store_b128 v[vgprLocalWriteAddrB], v[vgprG2LB+4:vgprG2LB+4+3] offset:4352 // lwoB_0_0_1_0 = (0*LSCB)*(MT1J+PAD) + (1*LSPB) = 4352
v_mfma_f32_16x16x4_f32 v[32+0:35+0], v[vgprValuB_X2_I0+12+2+0], v[vgprValuA_X3_I0+0+0+0+1], v[32:35]
 // Ci += Ai*Br
/*  mfmaIndex:74  */
_buffer_load_b128 v[vgprG2LB+4:vgprG2LB+4+3], v[vgprGlobalReadOffsetB+0], s[sgprSrdB:sgprSrdB+3], s[sgprScalarGlobalReadOffsetB+0], offen offset:0 // G -> Reg 0_0_1_0
v_mfma_f32_16x16x4_f32 v[12+0:15+0], v[vgprValuB_X2_I0+12+2+0+1], v199, v[12:15]
 // Cr += -Ai*Bi
/*  mfmaIndex:75  */
v_mfma_f32_16x16x4_f32 v[32+0:35+0], v[vgprValuB_X2_I0+12+2+0+1], v[vgprValuA_X3_I0+0+0+0], v[32:35]
 // Ci += Ar*Bi
/*  mfmaIndex:76  */
v_mfma_f32_16x16x4_f32 v[16+0:19+0], v[vgprValuB_X2_I0+16+2+0], v[vgprValuA_X3_I0+0+0+0], v[16:19]
 // Cr += Ar*Br
/*  mfmaIndex:77  */
v_mfma_f32_16x16x4_f32 v[36+0:39+0], v[vgprValuB_X2_I0+16+2+0], v[vgprValuA_X3_I0+0+0+0+1], v[36:39]
 // Ci += Ai*Br
/*  mfmaIndex:78  */
v_mfma_f32_16x16x4_f32 v[16+0:19+0], v[vgprValuB_X2_I0+16+2+0+1], v199, v[16:19]
 // Cr += -Ai*Bi
/*  mfmaIndex:79  */
v_mfma_f32_16x16x4_f32 v[36+0:39+0], v[vgprValuB_X2_I0+16+2+0+1], v[vgprValuA_X3_I0+0+0+0], v[36:39]
 // Ci += Ar*Bi


/* iter 4 */

/*  grEndMfmaIndex:4, lwStartMfmaIndex:28, lwEndMfmaIndex:147  */
/*  numMfmaForLR:10, barrierMfmaIndex:149, LocalWritePerMfma:0.110 */
/*  mfmaIndex:80  */
v_add_f32 v199, -v[vgprValuA_X4_I0+0+0+0+1], 0     // Ai=-Ai
v_mfma_f32_16x16x4_f32 v[0+0:3+0], v[vgprValuB_X4_I0+0+0+0], v[vgprValuA_X4_I0+0+0+0], v[0:3]
 // Cr += Ar*Br
/*  mfmaIndex:81  */
v_mfma_f32_16x16x4_f32 v[20+0:23+0], v[vgprValuB_X4_I0+0+0+0], v[vgprValuA_X4_I0+0+0+0+1], v[20:23]
 // Ci += Ai*Br
/*  mfmaIndex:82  */
/* sched write - iter 4 writesPerItem=1 */
s_waitcnt vmcnt(0)                                 // lgkmcnt=-1 vmcnt=0wait for global read before writing to local
_ds_store_b128 v[vgprLocalWriteAddrB], v[vgprG2LB+8:vgprG2LB+8+3] offset:8704 // lwoB_0_0_2_0 = (0*LSCB)*(MT1J+PAD) + (2*LSPB) = 8704
v_mfma_f32_16x16x4_f32 v[0+0:3+0], v[vgprValuB_X4_I0+0+0+0+1], v199, v[0:3]
 // Cr += -Ai*Bi
/*  mfmaIndex:83  */
_buffer_load_b128 v[vgprG2LB+8:vgprG2LB+8+3], v[vgprGlobalReadOffsetB+0], s[sgprSrdB:sgprSrdB+3], s[sgprScalarGlobalReadOffsetB+1], offen offset:0 // G -> Reg 0_0_2_0
v_mfma_f32_16x16x4_f32 v[20+0:23+0], v[vgprValuB_X4_I0+0+0+0+1], v[vgprValuA_X4_I0+0+0+0], v[20:23]
 // Ci += Ar*Bi
/*  mfmaIndex:84  */
v_mfma_f32_16x16x4_f32 v[4+0:7+0], v[vgprValuB_X4_I0+4+0+0], v[vgprValuA_X4_I0+0+0+0], v[4:7]
 // Cr += Ar*Br
/*  mfmaIndex:85  */
v_mfma_f32_16x16x4_f32 v[24+0:27+0], v[vgprValuB_X4_I0+4+0+0], v[vgprValuA_X4_I0+0+0+0+1], v[24:27]
 // Ci += Ai*Br
/*  mfmaIndex:86  */
v_mfma_f32_16x16x4_f32 v[4+0:7+0], v[vgprValuB_X4_I0+4+0+0+1], v199, v[4:7]
 // Cr += -Ai*Bi
/*  mfmaIndex:87  */
v_mfma_f32_16x16x4_f32 v[24+0:27+0], v[vgprValuB_X4_I0+4+0+0+1], v[vgprValuA_X4_I0+0+0+0], v[24:27]
 // Ci += Ar*Bi
/*  mfmaIndex:88  */
v_mfma_f32_16x16x4_f32 v[8+0:11+0], v[vgprValuB_X4_I0+8+0+0], v[vgprValuA_X4_I0+0+0+0], v[8:11]
 // Cr += Ar*Br
/*  mfmaIndex:89  */
v_mfma_f32_16x16x4_f32 v[28+0:31+0], v[vgprValuB_X4_I0+8+0+0], v[vgprValuA_X4_I0+0+0+0+1], v[28:31]
 // Ci += Ai*Br
/*  mfmaIndex:90  */
v_mfma_f32_16x16x4_f32 v[8+0:11+0], v[vgprValuB_X4_I0+8+0+0+1], v199, v[8:11]
 // Cr += -Ai*Bi
/*  mfmaIndex:91  */
/* sched write - iter 4 writesPerItem=1 */
s_waitcnt vmcnt(0)                                 // lgkmcnt=-1 vmcnt=0wait for global read before writing to local
_ds_store_b128 v[vgprLocalWriteAddrB], v[vgprG2LB+12:vgprG2LB+12+3] offset:13056 // lwoB_0_0_3_0 = (0*LSCB)*(MT1J+PAD) + (3*LSPB) = 13056
v_mfma_f32_16x16x4_f32 v[28+0:31+0], v[vgprValuB_X4_I0+8+0+0+1], v[vgprValuA_X4_I0+0+0+0], v[28:31]
 // Ci += Ar*Bi
/*  mfmaIndex:92  */
_buffer_load_b128 v[vgprG2LB+12:vgprG2LB+12+3], v[vgprGlobalReadOffsetB+0], s[sgprSrdB:sgprSrdB+3], s[sgprScalarGlobalReadOffsetB+2], offen offset:0 // G -> Reg 0_0_3_0
v_mfma_f32_16x16x4_f32 v[12+0:15+0], v[vgprValuB_X4_I0+12+0+0], v[vgprValuA_X4_I0+0+0+0], v[12:15]
 // Cr += Ar*Br
/*  mfmaIndex:93  */
v_mfma_f32_16x16x4_f32 v[32+0:35+0], v[vgprValuB_X4_I0+12+0+0], v[vgprValuA_X4_I0+0+0+0+1], v[32:35]
 // Ci += Ai*Br
/*  mfmaIndex:94  */
v_mfma_f32_16x16x4_f32 v[12+0:15+0], v[vgprValuB_X4_I0+12+0+0+1], v199, v[12:15]
 // Cr += -Ai*Bi
/*  mfmaIndex:95  */
v_mfma_f32_16x16x4_f32 v[32+0:35+0], v[vgprValuB_X4_I0+12+0+0+1], v[vgprValuA_X4_I0+0+0+0], v[32:35]
 // Ci += Ar*Bi
/*  mfmaIndex:96  */
v_mfma_f32_16x16x4_f32 v[16+0:19+0], v[vgprValuB_X4_I0+16+0+0], v[vgprValuA_X4_I0+0+0+0], v[16:19]
 // Cr += Ar*Br
/*  mfmaIndex:97  */
v_mfma_f32_16x16x4_f32 v[36+0:39+0], v[vgprValuB_X4_I0+16+0+0], v[vgprValuA_X4_I0+0+0+0+1], v[36:39]
 // Ci += Ai*Br
/*  mfmaIndex:98  */
v_mfma_f32_16x16x4_f32 v[16+0:19+0], v[vgprValuB_X4_I0+16+0+0+1], v199, v[16:19]
 // Cr += -Ai*Bi
/*  mfmaIndex:99  */
v_mfma_f32_16x16x4_f32 v[36+0:39+0], v[vgprValuB_X4_I0+16+0+0+1], v[vgprValuA_X4_I0+0+0+0], v[36:39]
 // Ci += Ar*Bi


/* iter 5 */

/*  grEndMfmaIndex:4, lwStartMfmaIndex:28, lwEndMfmaIndex:147  */
/*  numMfmaForLR:10, barrierMfmaIndex:149, LocalWritePerMfma:0.110 */
/*  mfmaIndex:100  */
/* sched write - iter 5 writesPerItem=1 */
s_waitcnt vmcnt(0)                                 // lgkmcnt=-1 vmcnt=0wait for global read before writing to local
_ds_store_b128 v[vgprLocalWriteAddrB], v[vgprG2LB+16:vgprG2LB+16+3] offset:17408 // lwoB_0_0_4_0 = (0*LSCB)*(MT1J+PAD) + (4*LSPB) = 17408
v_add_f32 v199, -v[vgprValuA_X5_I0+0+0+0+1], 0     // Ai=-Ai
v_mfma_f32_16x16x4_f32 v[0+0:3+0], v[vgprValuB_X4_I0+0+2+0], v[vgprValuA_X5_I0+0+0+0], v[0:3]
 // Cr += Ar*Br
/*  mfmaIndex:101  */
_buffer_load_b128 v[vgprG2LB+16:vgprG2LB+16+3], v[vgprGlobalReadOffsetB+0], s[sgprSrdB:sgprSrdB+3], s[sgprScalarGlobalReadOffsetB+3], offen offset:0 // G -> Reg 0_0_4_0
v_mfma_f32_16x16x4_f32 v[20+0:23+0], v[vgprValuB_X4_I0+0+2+0], v[vgprValuA_X5_I0+0+0+0+1], v[20:23]
 // Ci += Ai*Br
/*  mfmaIndex:102  */
v_mfma_f32_16x16x4_f32 v[0+0:3+0], v[vgprValuB_X4_I0+0+2+0+1], v199, v[0:3]
 // Cr += -Ai*Bi
/*  mfmaIndex:103  */
v_mfma_f32_16x16x4_f32 v[20+0:23+0], v[vgprValuB_X4_I0+0+2+0+1], v[vgprValuA_X5_I0+0+0+0], v[20:23]
 // Ci += Ar*Bi
/*  mfmaIndex:104  */
v_mfma_f32_16x16x4_f32 v[4+0:7+0], v[vgprValuB_X4_I0+4+2+0], v[vgprValuA_X5_I0+0+0+0], v[4:7]
 // Cr += Ar*Br
/*  mfmaIndex:105  */
v_mfma_f32_16x16x4_f32 v[24+0:27+0], v[vgprValuB_X4_I0+4+2+0], v[vgprValuA_X5_I0+0+0+0+1], v[24:27]
 // Ci += Ai*Br
/*  mfmaIndex:106  */
v_mfma_f32_16x16x4_f32 v[4+0:7+0], v[vgprValuB_X4_I0+4+2+0+1], v199, v[4:7]
 // Cr += -Ai*Bi
/*  mfmaIndex:107  */
v_mfma_f32_16x16x4_f32 v[24+0:27+0], v[vgprValuB_X4_I0+4+2+0+1], v[vgprValuA_X5_I0+0+0+0], v[24:27]
 // Ci += Ar*Bi
/*  mfmaIndex:108  */
v_mfma_f32_16x16x4_f32 v[8+0:11+0], v[vgprValuB_X4_I0+8+2+0], v[vgprValuA_X5_I0+0+0+0], v[8:11]
 // Cr += Ar*Br
/*  mfmaIndex:109  */
/* sched write - iter 5 writesPerItem=1 */
s_waitcnt vmcnt(0)                                 // lgkmcnt=-1 vmcnt=0wait for global read before writing to local
_ds_store_b128 v[vgprLocalWriteAddrB], v[vgprG2LB+20:vgprG2LB+20+3] offset:21760 // lwoB_0_0_5_0 = (0*LSCB)*(MT1J+PAD) + (5*LSPB) = 21760
v_mfma_f32_16x16x4_f32 v[28+0:31+0], v[vgprValuB_X4_I0+8+2+0], v[vgprValuA_X5_I0+0+0+0+1], v[28:31]
 // Ci += Ai*Br
/*  mfmaIndex:110  */
_buffer_load_b128 v[vgprG2LB+20:vgprG2LB+20+3], v[vgprGlobalReadOffsetB+0], s[sgprSrdB:sgprSrdB+3], s[sgprScalarGlobalReadOffsetB+4], offen offset:0 // G -> Reg 0_0_5_0
v_mfma_f32_16x16x4_f32 v[8+0:11+0], v[vgprValuB_X4_I0+8+2+0+1], v199, v[8:11]
 // Cr += -Ai*Bi
/*  mfmaIndex:111  */
v_mfma_f32_16x16x4_f32 v[28+0:31+0], v[vgprValuB_X4_I0+8+2+0+1], v[vgprValuA_X5_I0+0+0+0], v[28:31]
 // Ci += Ar*Bi
/*  mfmaIndex:112  */
v_mfma_f32_16x16x4_f32 v[12+0:15+0], v[vgprValuB_X4_I0+12+2+0], v[vgprValuA_X5_I0+0+0+0], v[12:15]
 // Cr += Ar*Br
/*  mfmaIndex:113  */
v_mfma_f32_16x16x4_f32 v[32+0:35+0], v[vgprValuB_X4_I0+12+2+0], v[vgprValuA_X5_I0+0+0+0+1], v[32:35]
 // Ci += Ai*Br
/*  mfmaIndex:114  */
v_mfma_f32_16x16x4_f32 v[12+0:15+0], v[vgprValuB_X4_I0+12+2+0+1], v199, v[12:15]
 // Cr += -Ai*Bi
/*  mfmaIndex:115  */
v_mfma_f32_16x16x4_f32 v[32+0:35+0], v[vgprValuB_X4_I0+12+2+0+1], v[vgprValuA_X5_I0+0+0+0], v[32:35]
 // Ci += Ar*Bi
/*  mfmaIndex:116  */
v_mfma_f32_16x16x4_f32 v[16+0:19+0], v[vgprValuB_X4_I0+16+2+0], v[vgprValuA_X5_I0+0+0+0], v[16:19]
 // Cr += Ar*Br
/*  mfmaIndex:117  */
v_mfma_f32_16x16x4_f32 v[36+0:39+0], v[vgprValuB_X4_I0+16+2+0], v[vgprValuA_X5_I0+0+0+0+1], v[36:39]
 // Ci += Ai*Br
/*  mfmaIndex:118  */
/* sched write - iter 5 writesPerItem=1 */
s_waitcnt vmcnt(0)                                 // lgkmcnt=-1 vmcnt=0wait for global read before writing to local
_ds_store_b128 v[vgprLocalWriteAddrB], v[vgprG2LB+24:vgprG2LB+24+3] offset:26112 // lwoB_0_0_6_0 = (0*LSCB)*(MT1J+PAD) + (6*LSPB) = 26112
v_mfma_f32_16x16x4_f32 v[16+0:19+0], v[vgprValuB_X4_I0+16+2+0+1], v199, v[16:19]
 // Cr += -Ai*Bi
/*  mfmaIndex:119  */
_buffer_load_b128 v[vgprG2LB+24:vgprG2LB+24+3], v[vgprGlobalReadOffsetB+0], s[sgprSrdB:sgprSrdB+3], s[sgprScalarGlobalReadOffsetB+5], offen offset:0 // G -> Reg 0_0_6_0
v_mfma_f32_16x16x4_f32 v[36+0:39+0], v[vgprValuB_X4_I0+16+2+0+1], v[vgprValuA_X5_I0+0+0+0], v[36:39]
 // Ci += Ar*Bi


/* iter 6 (reset local read pointers iteration)  (swap local read pointers iteration)  */

/*  grEndMfmaIndex:4, lwStartMfmaIndex:28, lwEndMfmaIndex:147  */
/*  numMfmaForLR:10, barrierMfmaIndex:149, LocalWritePerMfma:0.110 */
/*  mfmaIndex:120  */
v_add_f32 v199, -v[vgprValuA_X6_I0+0+0+0+1], 0     // Ai=-Ai
v_mfma_f32_16x16x4_f32 v[0+0:3+0], v[vgprValuB_X6_I0+0+0+0], v[vgprValuA_X6_I0+0+0+0], v[0:3]
 // Cr += Ar*Br
/*  mfmaIndex:121  */
v_mfma_f32_16x16x4_f32 v[20+0:23+0], v[vgprValuB_X6_I0+0+0+0], v[vgprValuA_X6_I0+0+0+0+1], v[20:23]
 // Ci += Ai*Br
/*  mfmaIndex:122  */
v_mfma_f32_16x16x4_f32 v[0+0:3+0], v[vgprValuB_X6_I0+0+0+0+1], v199, v[0:3]
 // Cr += -Ai*Bi
/*  mfmaIndex:123  */
v_mfma_f32_16x16x4_f32 v[20+0:23+0], v[vgprValuB_X6_I0+0+0+0+1], v[vgprValuA_X6_I0+0+0+0], v[20:23]
 // Ci += Ar*Bi
/*  mfmaIndex:124  */
v_mfma_f32_16x16x4_f32 v[4+0:7+0], v[vgprValuB_X6_I0+4+0+0], v[vgprValuA_X6_I0+0+0+0], v[4:7]
 // Cr += Ar*Br
/*  mfmaIndex:125  */
v_mfma_f32_16x16x4_f32 v[24+0:27+0], v[vgprValuB_X6_I0+4+0+0], v[vgprValuA_X6_I0+0+0+0+1], v[24:27]
 // Ci += Ai*Br
/*  mfmaIndex:126  */
v_mfma_f32_16x16x4_f32 v[4+0:7+0], v[vgprValuB_X6_I0+4+0+0+1], v199, v[4:7]
 // Cr += -Ai*Bi
/*  mfmaIndex:127  */
v_mfma_f32_16x16x4_f32 v[24+0:27+0], v[vgprValuB_X6_I0+4+0+0+1], v[vgprValuA_X6_I0+0+0+0], v[24:27]
 // Ci += Ar*Bi
/*  mfmaIndex:128  */
/* sched write - iter 6 writesPerItem=1 */
s_waitcnt vmcnt(0)                                 // lgkmcnt=-1 vmcnt=0wait for global read before writing to local
_ds_store_b128 v[vgprLocalWriteAddrB], v[vgprG2LB+28:vgprG2LB+28+3] offset:30464 // lwoB_0_0_7_0 = (0*LSCB)*(MT1J+PAD) + (7*LSPB) = 30464
v_mfma_f32_16x16x4_f32 v[8+0:11+0], v[vgprValuB_X6_I0+8+0+0], v[vgprValuA_X6_I0+0+0+0], v[8:11]
 // Cr += Ar*Br
/*  mfmaIndex:129  */
_buffer_load_b128 v[vgprG2LB+28:vgprG2LB+28+3], v[vgprGlobalReadOffsetB+0], s[sgprSrdB:sgprSrdB+3], s[sgprScalarGlobalReadOffsetB+6], offen offset:0 // G -> Reg 0_0_7_0
v_mfma_f32_16x16x4_f32 v[28+0:31+0], v[vgprValuB_X6_I0+8+0+0], v[vgprValuA_X6_I0+0+0+0+1], v[28:31]
 // Ci += Ai*Br
/*  mfmaIndex:130  */
v_mfma_f32_16x16x4_f32 v[8+0:11+0], v[vgprValuB_X6_I0+8+0+0+1], v199, v[8:11]
 // Cr += -Ai*Bi
/*  mfmaIndex:131  */
v_mfma_f32_16x16x4_f32 v[28+0:31+0], v[vgprValuB_X6_I0+8+0+0+1], v[vgprValuA_X6_I0+0+0+0], v[28:31]
 // Ci += Ar*Bi
/*  mfmaIndex:132  */
v_mfma_f32_16x16x4_f32 v[12+0:15+0], v[vgprValuB_X6_I0+12+0+0], v[vgprValuA_X6_I0+0+0+0], v[12:15]
 // Cr += Ar*Br
/*  mfmaIndex:133  */
v_mfma_f32_16x16x4_f32 v[32+0:35+0], v[vgprValuB_X6_I0+12+0+0], v[vgprValuA_X6_I0+0+0+0+1], v[32:35]
 // Ci += Ai*Br
/*  mfmaIndex:134  */
v_mfma_f32_16x16x4_f32 v[12+0:15+0], v[vgprValuB_X6_I0+12+0+0+1], v199, v[12:15]
 // Cr += -Ai*Bi
/*  mfmaIndex:135  */
v_mfma_f32_16x16x4_f32 v[32+0:35+0], v[vgprValuB_X6_I0+12+0+0+1], v[vgprValuA_X6_I0+0+0+0], v[32:35]
 // Ci += Ar*Bi
/*  mfmaIndex:136  */
v_mfma_f32_16x16x4_f32 v[16+0:19+0], v[vgprValuB_X6_I0+16+0+0], v[vgprValuA_X6_I0+0+0+0], v[16:19]
 // Cr += Ar*Br
/*  mfmaIndex:137  */
/* sched write - iter 6 writesPerItem=1 */
s_waitcnt vmcnt(0)                                 // lgkmcnt=-1 vmcnt=0wait for global read before writing to local
_ds_store_b128 v[vgprLocalWriteAddrB], v[vgprG2LB+32:vgprG2LB+32+3] offset:34816 // lwoB_0_0_8_0 = (0*LSCB)*(MT1J+PAD) + (8*LSPB) = 34816
v_mfma_f32_16x16x4_f32 v[36+0:39+0], v[vgprValuB_X6_I0+16+0+0], v[vgprValuA_X6_I0+0+0+0+1], v[36:39]
 // Ci += Ai*Br
/*  mfmaIndex:138  */
_buffer_load_b128 v[vgprG2LB+32:vgprG2LB+32+3], v[vgprGlobalReadOffsetB+0], s[sgprSrdB:sgprSrdB+3], s[sgprScalarGlobalReadOffsetB+7], offen offset:0 // G -> Reg 0_0_8_0
v_mfma_f32_16x16x4_f32 v[16+0:19+0], v[vgprValuB_X6_I0+16+0+0+1], v199, v[16:19]
 // Cr += -Ai*Bi
/*  mfmaIndex:139  */

/* local read swap offsets a */

/* local read swap offsets b */

/* local read init pointers a */

/* localReadInitPointers */

/* local read init pointers b */

/* localReadInitPointers */
v_mfma_f32_16x16x4_f32 v[36+0:39+0], v[vgprValuB_X6_I0+16+0+0+1], v[vgprValuA_X6_I0+0+0+0], v[36:39]
 // Ci += Ar*Bi


/* iter 7 (swap and reset local write pointers iteration)  */

/*  grEndMfmaIndex:4, lwStartMfmaIndex:28, lwEndMfmaIndex:147  */
/*  numMfmaForLR:10, barrierMfmaIndex:149, LocalWritePerMfma:0.110 */
/*  mfmaIndex:140  */
v_add_f32 v199, -v[vgprValuA_X7_I0+0+0+0+1], 0     // Ai=-Ai
v_mfma_f32_16x16x4_f32 v[0+0:3+0], v[vgprValuB_X6_I0+0+2+0], v[vgprValuA_X7_I0+0+0+0], v[0:3]
 // Cr += Ar*Br
/*  mfmaIndex:141  */
v_mfma_f32_16x16x4_f32 v[20+0:23+0], v[vgprValuB_X6_I0+0+2+0], v[vgprValuA_X7_I0+0+0+0+1], v[20:23]
 // Ci += Ai*Br
/*  mfmaIndex:142  */
v_mfma_f32_16x16x4_f32 v[0+0:3+0], v[vgprValuB_X6_I0+0+2+0+1], v199, v[0:3]
 // Cr += -Ai*Bi
/*  mfmaIndex:143  */
v_mfma_f32_16x16x4_f32 v[20+0:23+0], v[vgprValuB_X6_I0+0+2+0+1], v[vgprValuA_X7_I0+0+0+0], v[20:23]
 // Ci += Ar*Bi
/*  mfmaIndex:144  */
v_mfma_f32_16x16x4_f32 v[4+0:7+0], v[vgprValuB_X6_I0+4+2+0], v[vgprValuA_X7_I0+0+0+0], v[4:7]
 // Cr += Ar*Br
/*  mfmaIndex:145  */
v_mfma_f32_16x16x4_f32 v[24+0:27+0], v[vgprValuB_X6_I0+4+2+0], v[vgprValuA_X7_I0+0+0+0+1], v[24:27]
 // Ci += Ai*Br
/*  mfmaIndex:146  */
/* sched write - iter 7 writesPerItem=1 */
s_waitcnt vmcnt(0)                                 // lgkmcnt=-1 vmcnt=0wait for global read before writing to local
_ds_store_b128 v[vgprLocalWriteAddrB], v[vgprG2LB+36:vgprG2LB+36+3] offset:39168 // lwoB_0_0_9_0 = (0*LSCB)*(MT1J+PAD) + (9*LSPB) = 39168
v_mfma_f32_16x16x4_f32 v[4+0:7+0], v[vgprValuB_X6_I0+4+2+0+1], v199, v[4:7]
 // Cr += -Ai*Bi
/*  mfmaIndex:147  */
_buffer_load_b128 v[vgprG2LB+36:vgprG2LB+36+3], v[vgprGlobalReadOffsetB+0], s[sgprSrdB:sgprSrdB+3], s[sgprScalarGlobalReadOffsetB+8], offen offset:0 // G -> Reg 0_0_9_0

/* local write swap offsets a */

/* local write swap offsets b */
v_mfma_f32_16x16x4_f32 v[24+0:27+0], v[vgprValuB_X6_I0+4+2+0+1], v[vgprValuA_X7_I0+0+0+0], v[24:27]
 // Ci += Ar*Bi
/*  mfmaIndex:148  */
v_mfma_f32_16x16x4_f32 v[8+0:11+0], v[vgprValuB_X6_I0+8+2+0], v[vgprValuA_X7_I0+0+0+0], v[8:11]
 // Cr += Ar*Br
/*  mfmaIndex:149  */
s_waitcnt lgkmcnt(0)                               // lgkmcnt=0 vmcnt=-13wait for local write
// Skip force waitcnt0
s_barrier //
v_mfma_f32_16x16x4_f32 v[28+0:31+0], v[vgprValuB_X6_I0+8+2+0], v[vgprValuA_X7_I0+0+0+0+1], v[28:31]
 // Ci += Ai*Br
/*  mfmaIndex:150  */
_ds_load_b64 v[vgprValuA_X0_I0+0:vgprValuA_X0_I0+0+1], v[vgprLocalReadAddrA] offset:0 // L -> Reg lro=0 swapByteOffset=0 ti=32 vIdx=0 rIdx=0 oIdx=0 buffer=0 iui=0
v_mfma_f32_16x16x4_f32 v[8+0:11+0], v[vgprValuB_X6_I0+8+2+0+1], v199, v[8:11]
 // Cr += -Ai*Bi
/*  mfmaIndex:151  */
_ds_load_b128 v[vgprValuB_X0_I0+0:vgprValuB_X0_I0+0+3], v[vgprLocalReadAddrB] offset:0 // L -> Reg lro=0 swapByteOffset=0 ti=16 vIdx=0 rIdx=0 oIdx=0 buffer=0 iui=0
v_mfma_f32_16x16x4_f32 v[28+0:31+0], v[vgprValuB_X6_I0+8+2+0+1], v[vgprValuA_X7_I0+0+0+0], v[28:31]
 // Ci += Ar*Bi
/*  mfmaIndex:152  */
_ds_load_b128 v[vgprValuB_X0_I0+4:vgprValuB_X0_I0+4+3], v[vgprLocalReadAddrB] offset:8704 // L -> Reg lro=0 swapByteOffset=0 ti=16 vIdx=1 rIdx=0 oIdx=0 buffer=0 iui=0
v_mfma_f32_16x16x4_f32 v[12+0:15+0], v[vgprValuB_X6_I0+12+2+0], v[vgprValuA_X7_I0+0+0+0], v[12:15]
 // Cr += Ar*Br
/*  mfmaIndex:153  */
_ds_load_b128 v[vgprValuB_X0_I0+8:vgprValuB_X0_I0+8+3], v[vgprLocalReadAddrB] offset:17408 // L -> Reg lro=0 swapByteOffset=0 ti=16 vIdx=2 rIdx=0 oIdx=0 buffer=0 iui=0
v_mfma_f32_16x16x4_f32 v[32+0:35+0], v[vgprValuB_X6_I0+12+2+0], v[vgprValuA_X7_I0+0+0+0+1], v[32:35]
 // Ci += Ai*Br
/*  mfmaIndex:154  */
_ds_load_b128 v[vgprValuB_X0_I0+12:vgprValuB_X0_I0+12+3], v[vgprLocalReadAddrB] offset:26112 // L -> Reg lro=0 swapByteOffset=0 ti=16 vIdx=3 rIdx=0 oIdx=0 buffer=0 iui=0
v_mfma_f32_16x16x4_f32 v[12+0:15+0], v[vgprValuB_X6_I0+12+2+0+1], v199, v[12:15]
 // Cr += -Ai*Bi
/*  mfmaIndex:155  */
_ds_load_b128 v[vgprValuB_X0_I0+16:vgprValuB_X0_I0+16+3], v[vgprLocalReadAddrB] offset:34816 // L -> Reg lro=0 swapByteOffset=0 ti=16 vIdx=4 rIdx=0 oIdx=0 buffer=0 iui=0
v_mfma_f32_16x16x4_f32 v[32+0:35+0], v[vgprValuB_X6_I0+12+2+0+1], v[vgprValuA_X7_I0+0+0+0], v[32:35]
 // Ci += Ar*Bi
/*  mfmaIndex:156  */
v_mfma_f32_16x16x4_f32 v[16+0:19+0], v[vgprValuB_X6_I0+16+2+0], v[vgprValuA_X7_I0+0+0+0], v[16:19]
 // Cr += Ar*Br
/*  mfmaIndex:157  */
v_mfma_f32_16x16x4_f32 v[36+0:39+0], v[vgprValuB_X6_I0+16+2+0], v[vgprValuA_X7_I0+0+0+0+1], v[36:39]
 // Ci += Ai*Br
/*  mfmaIndex:158  */
v_mfma_f32_16x16x4_f32 v[16+0:19+0], v[vgprValuB_X6_I0+16+2+0+1], v199, v[16:19]
 // Cr += -Ai*Bi
/*  mfmaIndex:159  */
v_mfma_f32_16x16x4_f32 v[36+0:39+0], v[vgprValuB_X6_I0+16+2+0+1], v[vgprValuA_X7_I0+0+0+0], v[36:39]
 // Ci += Ar*Bi


/******************************************/
/* Unrolled Loop - End 2/2 (final)        */
/******************************************/


/* closeLoop loopL finalLoop=1 tailLoop=0 */
s_sub_u32 s[sgprLoopCounterL], s[sgprLoopCounterL], 1 // dec counterL
s_cmp_eq_i32 s[sgprLoopCounterL], 0x2              // counterL==2
s_cbranch_scc0 LoopBeginL_1                        // restart LoopL
LoopEndL_evenexit_4: // unroll loop eveniter exit
s_branch LoopEndL_2                                // exit unroll loopL (and skip second exit code)
LoopEndL_oddexit_3: // unroll loop odditer exit

/* Select high bank of LDS */
LoopEndL_2:


/* Before NLL: Check VGPR.checkin for INT8 LW */


/******************************************/
/* Ord. NoGlobalLoadLoop - Begin                                      */
/******************************************/



/* iter 0 */

/*  grEndMfmaIndex:4, lwStartMfmaIndex:28, lwEndMfmaIndex:147  */
/*  numMfmaForLR:10, barrierMfmaIndex:149, LocalWritePerMfma:0.110 */
/*  mfmaIndex:0  */
s_waitcnt lgkmcnt(0)                               // lgkmcnt=0 vmcnt=-1wait for prior local read local write old=0, new=0 newLW=0 newLR=0
v_add_f32 v199, -v[vgprValuA_X0_I0+0+0+0+1], 0     // Ai=-Ai
v_mfma_f32_16x16x4_f32 v[0+0:3+0], v[vgprValuB_X0_I0+0+0+0], v[vgprValuA_X0_I0+0+0+0], v[0:3]
 // Cr += Ar*Br
/*  mfmaIndex:1  */
_ds_load_b64 v[vgprValuA_X1_I0+0:vgprValuA_X1_I0+0+1], v[vgprLocalReadAddrA] offset:256 // L -> Reg lro=32 swapByteOffset=0 ti=32 vIdx=0 rIdx=0 oIdx=0 buffer=1 iui=0

/* global read inc A loopL */
s_add_u32 s[sgprSrdA+0], s[sgprSrdA+0], s[sgprGlobalReadIncsA+0] // gra SRD += inc(lower)
s_addc_u32  s[sgprSrdA+1], s[sgprSrdA+1], 0        // gra SRD += inc(upper)
s_sub_u32 s[sgprShadowLimitA+0], s[sgprShadowLimitA+0], s[sgprGlobalReadIncsA+0] // limit -= inc)
v_mfma_f32_16x16x4_f32 v[20+0:23+0], v[vgprValuB_X0_I0+0+0+0], v[vgprValuA_X0_I0+0+0+0+1], v[20:23]
 // Ci += Ai*Br
/*  mfmaIndex:2  */
_ds_load_b128 v[vgprValuB_X2_I0+0:vgprValuB_X2_I0+0+3], v[vgprLocalReadAddrB] offset:128 // L -> Reg lro=16 swapByteOffset=0 ti=16 vIdx=0 rIdx=0 oIdx=0 buffer=2 iui=0
s_subb_u32 s[sgprShadowLimitA+1], s[sgprShadowLimitA+1], 0 // limit -= inc)
s_cmp_eq_u32 s[sgprShadowLimitA+1], 0              // are we within 2^32?
s_cmov_b32 s[sgprSrdA+2], s[sgprShadowLimitA+0]    // Move shadow to real if we are within 2^32
v_mfma_f32_16x16x4_f32 v[0+0:3+0], v[vgprValuB_X0_I0+0+0+0+1], v199, v[0:3]
 // Cr += -Ai*Bi
/*  mfmaIndex:3  */
_ds_load_b128 v[vgprValuB_X2_I0+4:vgprValuB_X2_I0+4+3], v[vgprLocalReadAddrB] offset:8832 // L -> Reg lro=16 swapByteOffset=0 ti=16 vIdx=1 rIdx=0 oIdx=0 buffer=2 iui=0

/* global read inc B loopL */
s_add_u32 s[sgprSrdB+0], s[sgprSrdB+0], s[sgprGlobalReadIncsB+0] // gra SRD += inc(lower)
s_addc_u32  s[sgprSrdB+1], s[sgprSrdB+1], 0        // gra SRD += inc(upper)
s_sub_u32 s[sgprShadowLimitB+0], s[sgprShadowLimitB+0], s[sgprGlobalReadIncsB+0] // limit -= inc)
v_mfma_f32_16x16x4_f32 v[20+0:23+0], v[vgprValuB_X0_I0+0+0+0+1], v[vgprValuA_X0_I0+0+0+0], v[20:23]
 // Ci += Ar*Bi
/*  mfmaIndex:4  */
_ds_load_b128 v[vgprValuB_X2_I0+8:vgprValuB_X2_I0+8+3], v[vgprLocalReadAddrB] offset:17536 // L -> Reg lro=16 swapByteOffset=0 ti=16 vIdx=2 rIdx=0 oIdx=0 buffer=2 iui=0
s_subb_u32 s[sgprShadowLimitB+1], s[sgprShadowLimitB+1], 0 // limit -= inc)
s_cmp_eq_u32 s[sgprShadowLimitB+1], 0              // are we within 2^32?
s_cmov_b32 s[sgprSrdB+2], s[sgprShadowLimitB+0]    // Move shadow to real if we are within 2^32
v_mfma_f32_16x16x4_f32 v[4+0:7+0], v[vgprValuB_X0_I0+4+0+0], v[vgprValuA_X0_I0+0+0+0], v[4:7]
 // Cr += Ar*Br
/*  mfmaIndex:5  */
_ds_load_b128 v[vgprValuB_X2_I0+12:vgprValuB_X2_I0+12+3], v[vgprLocalReadAddrB] offset:26240 // L -> Reg lro=16 swapByteOffset=0 ti=16 vIdx=3 rIdx=0 oIdx=0 buffer=2 iui=0
v_mfma_f32_16x16x4_f32 v[24+0:27+0], v[vgprValuB_X0_I0+4+0+0], v[vgprValuA_X0_I0+0+0+0+1], v[24:27]
 // Ci += Ai*Br
/*  mfmaIndex:6  */
_ds_load_b128 v[vgprValuB_X2_I0+16:vgprValuB_X2_I0+16+3], v[vgprLocalReadAddrB] offset:34944 // L -> Reg lro=16 swapByteOffset=0 ti=16 vIdx=4 rIdx=0 oIdx=0 buffer=2 iui=0
/* localReadsVacancy: latencyLeft 1 */
v_mfma_f32_16x16x4_f32 v[4+0:7+0], v[vgprValuB_X0_I0+4+0+0+1], v199, v[4:7]
 // Cr += -Ai*Bi
/*  mfmaIndex:7  */
/* localReadsVacancy: latencyLeft 5 */
_ds_load_b64 v[vgprValuA_X2_I0+0:vgprValuA_X2_I0+0+1], v[vgprLocalReadAddrA] offset:4096 // L -> Reg lro=512 swapByteOffset=0 ti=32 vIdx=0 rIdx=0 oIdx=0 buffer=2 iui=0
v_mfma_f32_16x16x4_f32 v[24+0:27+0], v[vgprValuB_X0_I0+4+0+0+1], v[vgprValuA_X0_I0+0+0+0], v[24:27]
 // Ci += Ar*Bi
/*  mfmaIndex:8  */
/* localReadsVacancy: latencyLeft 5 */
_ds_load_b128 v[vgprValuB_X4_I0+0:vgprValuB_X4_I0+0+3], v[vgprLocalReadAddrB] offset:256 // L -> Reg lro=32 swapByteOffset=0 ti=16 vIdx=0 rIdx=0 oIdx=0 buffer=4 iui=0
v_mfma_f32_16x16x4_f32 v[8+0:11+0], v[vgprValuB_X0_I0+8+0+0], v[vgprValuA_X0_I0+0+0+0], v[8:11]
 // Cr += Ar*Br
/*  mfmaIndex:9  */
/* localReadsVacancy: latencyLeft 5 */
_ds_load_b128 v[vgprValuB_X4_I0+4:vgprValuB_X4_I0+4+3], v[vgprLocalReadAddrB] offset:8960 // L -> Reg lro=32 swapByteOffset=0 ti=16 vIdx=1 rIdx=0 oIdx=0 buffer=4 iui=0
v_mfma_f32_16x16x4_f32 v[28+0:31+0], v[vgprValuB_X0_I0+8+0+0], v[vgprValuA_X0_I0+0+0+0+1], v[28:31]
 // Ci += Ai*Br
/*  mfmaIndex:10  */
/* localReadsVacancy: latencyLeft 5 */
_ds_load_b128 v[vgprValuB_X4_I0+8:vgprValuB_X4_I0+8+3], v[vgprLocalReadAddrB] offset:17664 // L -> Reg lro=32 swapByteOffset=0 ti=16 vIdx=2 rIdx=0 oIdx=0 buffer=4 iui=0
v_mfma_f32_16x16x4_f32 v[8+0:11+0], v[vgprValuB_X0_I0+8+0+0+1], v199, v[8:11]
 // Cr += -Ai*Bi
/*  mfmaIndex:11  */
/* localReadsVacancy: latencyLeft 5 */
_ds_load_b128 v[vgprValuB_X4_I0+12:vgprValuB_X4_I0+12+3], v[vgprLocalReadAddrB] offset:26368 // L -> Reg lro=32 swapByteOffset=0 ti=16 vIdx=3 rIdx=0 oIdx=0 buffer=4 iui=0
v_mfma_f32_16x16x4_f32 v[28+0:31+0], v[vgprValuB_X0_I0+8+0+0+1], v[vgprValuA_X0_I0+0+0+0], v[28:31]
 // Ci += Ar*Bi
/*  mfmaIndex:12  */
/* localReadsVacancy: latencyLeft 5 */
_ds_load_b128 v[vgprValuB_X4_I0+16:vgprValuB_X4_I0+16+3], v[vgprLocalReadAddrB] offset:35072 // L -> Reg lro=32 swapByteOffset=0 ti=16 vIdx=4 rIdx=0 oIdx=0 buffer=4 iui=0
v_mfma_f32_16x16x4_f32 v[12+0:15+0], v[vgprValuB_X0_I0+12+0+0], v[vgprValuA_X0_I0+0+0+0], v[12:15]
 // Cr += Ar*Br
/*  mfmaIndex:13  */
/* localReadsVacancy: latencyLeft 5 */
_ds_load_b64 v[vgprValuA_X3_I0+0:vgprValuA_X3_I0+0+1], v[vgprLocalReadAddrA] offset:4352 // L -> Reg lro=544 swapByteOffset=0 ti=32 vIdx=0 rIdx=0 oIdx=0 buffer=3 iui=0
v_mfma_f32_16x16x4_f32 v[32+0:35+0], v[vgprValuB_X0_I0+12+0+0], v[vgprValuA_X0_I0+0+0+0+1], v[32:35]
 // Ci += Ai*Br
/*  mfmaIndex:14  */
/* localReadsVacancy: latencyLeft 5 */
_ds_load_b128 v[vgprValuB_X6_I0+0:vgprValuB_X6_I0+0+3], v[vgprLocalReadAddrB] offset:384 // L -> Reg lro=48 swapByteOffset=0 ti=16 vIdx=0 rIdx=0 oIdx=0 buffer=6 iui=0
v_mfma_f32_16x16x4_f32 v[12+0:15+0], v[vgprValuB_X0_I0+12+0+0+1], v199, v[12:15]
 // Cr += -Ai*Bi
/*  mfmaIndex:15  */
/* localReadsVacancy: latencyLeft 5 */
_ds_load_b128 v[vgprValuB_X6_I0+4:vgprValuB_X6_I0+4+3], v[vgprLocalReadAddrB] offset:9088 // L -> Reg lro=48 swapByteOffset=0 ti=16 vIdx=1 rIdx=0 oIdx=0 buffer=6 iui=0
v_mfma_f32_16x16x4_f32 v[32+0:35+0], v[vgprValuB_X0_I0+12+0+0+1], v[vgprValuA_X0_I0+0+0+0], v[32:35]
 // Ci += Ar*Bi
/*  mfmaIndex:16  */
/* localReadsVacancy: latencyLeft 5 */
_ds_load_b128 v[vgprValuB_X6_I0+8:vgprValuB_X6_I0+8+3], v[vgprLocalReadAddrB] offset:17792 // L -> Reg lro=48 swapByteOffset=0 ti=16 vIdx=2 rIdx=0 oIdx=0 buffer=6 iui=0
v_mfma_f32_16x16x4_f32 v[16+0:19+0], v[vgprValuB_X0_I0+16+0+0], v[vgprValuA_X0_I0+0+0+0], v[16:19]
 // Cr += Ar*Br
/*  mfmaIndex:17  */
/* localReadsVacancy: latencyLeft 5 */
_ds_load_b128 v[vgprValuB_X6_I0+12:vgprValuB_X6_I0+12+3], v[vgprLocalReadAddrB] offset:26496 // L -> Reg lro=48 swapByteOffset=0 ti=16 vIdx=3 rIdx=0 oIdx=0 buffer=6 iui=0
v_mfma_f32_16x16x4_f32 v[36+0:39+0], v[vgprValuB_X0_I0+16+0+0], v[vgprValuA_X0_I0+0+0+0+1], v[36:39]
 // Ci += Ai*Br
/*  mfmaIndex:18  */
/* localReadsVacancy: latencyLeft 5 */
_ds_load_b128 v[vgprValuB_X6_I0+16:vgprValuB_X6_I0+16+3], v[vgprLocalReadAddrB] offset:35200 // L -> Reg lro=48 swapByteOffset=0 ti=16 vIdx=4 rIdx=0 oIdx=0 buffer=6 iui=0
v_mfma_f32_16x16x4_f32 v[16+0:19+0], v[vgprValuB_X0_I0+16+0+0+1], v199, v[16:19]
 // Cr += -Ai*Bi
/*  mfmaIndex:19  */
/* localReadsVacancy: latencyLeft 5 */
_ds_load_b64 v[vgprValuA_X4_I0+0:vgprValuA_X4_I0+0+1], v[vgprLocalReadAddrA] offset:8192 // L -> Reg lro=1024 swapByteOffset=0 ti=32 vIdx=0 rIdx=0 oIdx=0 buffer=4 iui=0
_ds_load_b64 v[vgprValuA_X5_I0+0:vgprValuA_X5_I0+0+1], v[vgprLocalReadAddrA] offset:8448 // L -> Reg lro=1056 swapByteOffset=0 ti=32 vIdx=0 rIdx=0 oIdx=0 buffer=5 iui=0
v_mfma_f32_16x16x4_f32 v[36+0:39+0], v[vgprValuB_X0_I0+16+0+0+1], v[vgprValuA_X0_I0+0+0+0], v[36:39]
 // Ci += Ar*Bi
/* numPrefetchIter=0 */
/* dataAtIterA=-1 numReadsIterA=1 skipReadsIterA=1 readsPerIterA=1 */
/* dataAtIterB=-1 numReadsIterB=1 skipReadsIterB=1 readsPerIterB=5 */


/* iter 1 */

/*  grEndMfmaIndex:4, lwStartMfmaIndex:28, lwEndMfmaIndex:147  */
/*  numMfmaForLR:10, barrierMfmaIndex:149, LocalWritePerMfma:0.110 */
/*  mfmaIndex:20  */
/* localReadsVacancy: latencyLeft 5 */
_ds_load_b64 v[vgprValuA_X6_I0+0:vgprValuA_X6_I0+0+1], v[vgprLocalReadAddrA] offset:12288 // L -> Reg lro=1536 swapByteOffset=0 ti=32 vIdx=0 rIdx=0 oIdx=0 buffer=6 iui=0
_ds_load_b64 v[vgprValuA_X7_I0+0:vgprValuA_X7_I0+0+1], v[vgprLocalReadAddrA] offset:12544 // L -> Reg lro=1568 swapByteOffset=0 ti=32 vIdx=0 rIdx=0 oIdx=0 buffer=7 iui=0
s_waitcnt lgkmcnt(15)                              // lgkmcnt=0 vmcnt=-1wait for prior local read local write old=6, new=6 newLW=0 newLR=0
v_add_f32 v199, -v[vgprValuA_X1_I0+0+0+0+1], 0     // Ai=-Ai
v_mfma_f32_16x16x4_f32 v[0+0:3+0], v[vgprValuB_X0_I0+0+2+0], v[vgprValuA_X1_I0+0+0+0], v[0:3]
 // Cr += Ar*Br
/*  mfmaIndex:21  */
/* localReadsVacancy: latencyLeft 5 */
v_mfma_f32_16x16x4_f32 v[20+0:23+0], v[vgprValuB_X0_I0+0+2+0], v[vgprValuA_X1_I0+0+0+0+1], v[20:23]
 // Ci += Ai*Br
/*  mfmaIndex:22  */
/* localReadsVacancy: latencyLeft 5 */
v_mfma_f32_16x16x4_f32 v[0+0:3+0], v[vgprValuB_X0_I0+0+2+0+1], v199, v[0:3]
 // Cr += -Ai*Bi
/*  mfmaIndex:23  */
/* localReadsVacancy: latencyLeft 5 */
v_mfma_f32_16x16x4_f32 v[20+0:23+0], v[vgprValuB_X0_I0+0+2+0+1], v[vgprValuA_X1_I0+0+0+0], v[20:23]
 // Ci += Ar*Bi
/*  mfmaIndex:24  */
/* localReadsVacancy: latencyLeft 5 */
v_mfma_f32_16x16x4_f32 v[4+0:7+0], v[vgprValuB_X0_I0+4+2+0], v[vgprValuA_X1_I0+0+0+0], v[4:7]
 // Cr += Ar*Br
/*  mfmaIndex:25  */
/* localReadsVacancy: latencyLeft 5 */
v_mfma_f32_16x16x4_f32 v[24+0:27+0], v[vgprValuB_X0_I0+4+2+0], v[vgprValuA_X1_I0+0+0+0+1], v[24:27]
 // Ci += Ai*Br
/*  mfmaIndex:26  */
/* localReadsVacancy: latencyLeft 5 */
v_mfma_f32_16x16x4_f32 v[4+0:7+0], v[vgprValuB_X0_I0+4+2+0+1], v199, v[4:7]
 // Cr += -Ai*Bi
/*  mfmaIndex:27  */
/* localReadsVacancy: latencyLeft 5 */
/* 1 LDS buffer: read-sync-write */
s_waitcnt lgkmcnt(0)                               // 
s_barrier                                          // 
v_mfma_f32_16x16x4_f32 v[24+0:27+0], v[vgprValuB_X0_I0+4+2+0+1], v[vgprValuA_X1_I0+0+0+0], v[24:27]
 // Ci += Ar*Bi
/*  mfmaIndex:28  */
/* sched write - iter 1 writesPerItem=1 */
s_waitcnt vmcnt(0)                                 // lgkmcnt=-1 vmcnt=0wait for global read before writing to local
_ds_store_b128 v[vgprLocalWriteAddrA], v[vgprG2LA+0:vgprG2LA+0+3] offset:0 // lwoA_0_0_0_0 = (0*LSCA) + (0*LSPA)(*MT0I+PAD) = 0
v_mfma_f32_16x16x4_f32 v[8+0:11+0], v[vgprValuB_X0_I0+8+2+0], v[vgprValuA_X1_I0+0+0+0], v[8:11]
 // Cr += Ar*Br
/*  mfmaIndex:29  */
v_mfma_f32_16x16x4_f32 v[28+0:31+0], v[vgprValuB_X0_I0+8+2+0], v[vgprValuA_X1_I0+0+0+0+1], v[28:31]
 // Ci += Ai*Br
/*  mfmaIndex:30  */
v_mfma_f32_16x16x4_f32 v[8+0:11+0], v[vgprValuB_X0_I0+8+2+0+1], v199, v[8:11]
 // Cr += -Ai*Bi
/*  mfmaIndex:31  */
v_mfma_f32_16x16x4_f32 v[28+0:31+0], v[vgprValuB_X0_I0+8+2+0+1], v[vgprValuA_X1_I0+0+0+0], v[28:31]
 // Ci += Ar*Bi
/*  mfmaIndex:32  */
v_mfma_f32_16x16x4_f32 v[12+0:15+0], v[vgprValuB_X0_I0+12+2+0], v[vgprValuA_X1_I0+0+0+0], v[12:15]
 // Cr += Ar*Br
/*  mfmaIndex:33  */
v_mfma_f32_16x16x4_f32 v[32+0:35+0], v[vgprValuB_X0_I0+12+2+0], v[vgprValuA_X1_I0+0+0+0+1], v[32:35]
 // Ci += Ai*Br
/*  mfmaIndex:34  */
v_mfma_f32_16x16x4_f32 v[12+0:15+0], v[vgprValuB_X0_I0+12+2+0+1], v199, v[12:15]
 // Cr += -Ai*Bi
/*  mfmaIndex:35  */
v_mfma_f32_16x16x4_f32 v[32+0:35+0], v[vgprValuB_X0_I0+12+2+0+1], v[vgprValuA_X1_I0+0+0+0], v[32:35]
 // Ci += Ar*Bi
/*  mfmaIndex:36  */
v_mfma_f32_16x16x4_f32 v[16+0:19+0], v[vgprValuB_X0_I0+16+2+0], v[vgprValuA_X1_I0+0+0+0], v[16:19]
 // Cr += Ar*Br
/*  mfmaIndex:37  */
/* sched write - iter 1 writesPerItem=1 */
s_waitcnt vmcnt(0)                                 // lgkmcnt=-1 vmcnt=0wait for global read before writing to local
_ds_store_b128 v[vgprLocalWriteAddrA], v[vgprG2LA+4:vgprG2LA+4+3] offset:4096 // lwoA_0_0_1_0 = (0*LSCA) + (1*LSPA)(*MT0I+PAD) = 4096
v_mfma_f32_16x16x4_f32 v[36+0:39+0], v[vgprValuB_X0_I0+16+2+0], v[vgprValuA_X1_I0+0+0+0+1], v[36:39]
 // Ci += Ai*Br
/*  mfmaIndex:38  */
v_mfma_f32_16x16x4_f32 v[16+0:19+0], v[vgprValuB_X0_I0+16+2+0+1], v199, v[16:19]
 // Cr += -Ai*Bi
/*  mfmaIndex:39  */
v_mfma_f32_16x16x4_f32 v[36+0:39+0], v[vgprValuB_X0_I0+16+2+0+1], v[vgprValuA_X1_I0+0+0+0], v[36:39]
 // Ci += Ar*Bi
/* numPrefetchIter=0 */
/* dataAtIterA=0 numReadsIterA=2 skipReadsIterA=1 readsPerIterA=1 */
/* dataAtIterB=-1 numReadsIterB=2 skipReadsIterB=0 readsPerIterB=5 */


/* iter 2 */

/*  grEndMfmaIndex:4, lwStartMfmaIndex:28, lwEndMfmaIndex:147  */
/*  numMfmaForLR:10, barrierMfmaIndex:149, LocalWritePerMfma:0.110 */
/*  mfmaIndex:40  */
v_add_f32 v199, -v[vgprValuA_X2_I0+0+0+0+1], 0     // Ai=-Ai
v_mfma_f32_16x16x4_f32 v[0+0:3+0], v[vgprValuB_X2_I0+0+0+0], v[vgprValuA_X2_I0+0+0+0], v[0:3]
 // Cr += Ar*Br
/*  mfmaIndex:41  */
v_mfma_f32_16x16x4_f32 v[20+0:23+0], v[vgprValuB_X2_I0+0+0+0], v[vgprValuA_X2_I0+0+0+0+1], v[20:23]
 // Ci += Ai*Br
/*  mfmaIndex:42  */
v_mfma_f32_16x16x4_f32 v[0+0:3+0], v[vgprValuB_X2_I0+0+0+0+1], v199, v[0:3]
 // Cr += -Ai*Bi
/*  mfmaIndex:43  */
v_mfma_f32_16x16x4_f32 v[20+0:23+0], v[vgprValuB_X2_I0+0+0+0+1], v[vgprValuA_X2_I0+0+0+0], v[20:23]
 // Ci += Ar*Bi
/*  mfmaIndex:44  */
v_mfma_f32_16x16x4_f32 v[4+0:7+0], v[vgprValuB_X2_I0+4+0+0], v[vgprValuA_X2_I0+0+0+0], v[4:7]
 // Cr += Ar*Br
/*  mfmaIndex:45  */
v_mfma_f32_16x16x4_f32 v[24+0:27+0], v[vgprValuB_X2_I0+4+0+0], v[vgprValuA_X2_I0+0+0+0+1], v[24:27]
 // Ci += Ai*Br
/*  mfmaIndex:46  */
/* sched write - iter 2 writesPerItem=1 */
s_waitcnt vmcnt(0)                                 // lgkmcnt=-1 vmcnt=0wait for global read before writing to local
_ds_store_b128 v[vgprLocalWriteAddrA], v[vgprG2LA+8:vgprG2LA+8+3] offset:8192 // lwoA_0_0_2_0 = (0*LSCA) + (2*LSPA)(*MT0I+PAD) = 8192
v_mfma_f32_16x16x4_f32 v[4+0:7+0], v[vgprValuB_X2_I0+4+0+0+1], v199, v[4:7]
 // Cr += -Ai*Bi
/*  mfmaIndex:47  */
v_mfma_f32_16x16x4_f32 v[24+0:27+0], v[vgprValuB_X2_I0+4+0+0+1], v[vgprValuA_X2_I0+0+0+0], v[24:27]
 // Ci += Ar*Bi
/*  mfmaIndex:48  */
v_mfma_f32_16x16x4_f32 v[8+0:11+0], v[vgprValuB_X2_I0+8+0+0], v[vgprValuA_X2_I0+0+0+0], v[8:11]
 // Cr += Ar*Br
/*  mfmaIndex:49  */
v_mfma_f32_16x16x4_f32 v[28+0:31+0], v[vgprValuB_X2_I0+8+0+0], v[vgprValuA_X2_I0+0+0+0+1], v[28:31]
 // Ci += Ai*Br
/*  mfmaIndex:50  */
v_mfma_f32_16x16x4_f32 v[8+0:11+0], v[vgprValuB_X2_I0+8+0+0+1], v199, v[8:11]
 // Cr += -Ai*Bi
/*  mfmaIndex:51  */
v_mfma_f32_16x16x4_f32 v[28+0:31+0], v[vgprValuB_X2_I0+8+0+0+1], v[vgprValuA_X2_I0+0+0+0], v[28:31]
 // Ci += Ar*Bi
/*  mfmaIndex:52  */
v_mfma_f32_16x16x4_f32 v[12+0:15+0], v[vgprValuB_X2_I0+12+0+0], v[vgprValuA_X2_I0+0+0+0], v[12:15]
 // Cr += Ar*Br
/*  mfmaIndex:53  */
v_mfma_f32_16x16x4_f32 v[32+0:35+0], v[vgprValuB_X2_I0+12+0+0], v[vgprValuA_X2_I0+0+0+0+1], v[32:35]
 // Ci += Ai*Br
/*  mfmaIndex:54  */
v_mfma_f32_16x16x4_f32 v[12+0:15+0], v[vgprValuB_X2_I0+12+0+0+1], v199, v[12:15]
 // Cr += -Ai*Bi
/*  mfmaIndex:55  */
/* sched write - iter 2 writesPerItem=1 */
s_waitcnt vmcnt(0)                                 // lgkmcnt=-1 vmcnt=0wait for global read before writing to local
_ds_store_b128 v[vgprLocalWriteAddrA], v[vgprG2LA+12:vgprG2LA+12+3] offset:12288 // lwoA_0_0_3_0 = (0*LSCA) + (3*LSPA)(*MT0I+PAD) = 12288
v_mfma_f32_16x16x4_f32 v[32+0:35+0], v[vgprValuB_X2_I0+12+0+0+1], v[vgprValuA_X2_I0+0+0+0], v[32:35]
 // Ci += Ar*Bi
/*  mfmaIndex:56  */
v_mfma_f32_16x16x4_f32 v[16+0:19+0], v[vgprValuB_X2_I0+16+0+0], v[vgprValuA_X2_I0+0+0+0], v[16:19]
 // Cr += Ar*Br
/*  mfmaIndex:57  */
v_mfma_f32_16x16x4_f32 v[36+0:39+0], v[vgprValuB_X2_I0+16+0+0], v[vgprValuA_X2_I0+0+0+0+1], v[36:39]
 // Ci += Ai*Br
/*  mfmaIndex:58  */
v_mfma_f32_16x16x4_f32 v[16+0:19+0], v[vgprValuB_X2_I0+16+0+0+1], v199, v[16:19]
 // Cr += -Ai*Bi
/*  mfmaIndex:59  */
v_mfma_f32_16x16x4_f32 v[36+0:39+0], v[vgprValuB_X2_I0+16+0+0+1], v[vgprValuA_X2_I0+0+0+0], v[36:39]
 // Ci += Ar*Bi


/* iter 3 */

/*  grEndMfmaIndex:4, lwStartMfmaIndex:28, lwEndMfmaIndex:147  */
/*  numMfmaForLR:10, barrierMfmaIndex:149, LocalWritePerMfma:0.110 */
/*  mfmaIndex:60  */
v_add_f32 v199, -v[vgprValuA_X3_I0+0+0+0+1], 0     // Ai=-Ai
v_mfma_f32_16x16x4_f32 v[0+0:3+0], v[vgprValuB_X2_I0+0+2+0], v[vgprValuA_X3_I0+0+0+0], v[0:3]
 // Cr += Ar*Br
/*  mfmaIndex:61  */
v_mfma_f32_16x16x4_f32 v[20+0:23+0], v[vgprValuB_X2_I0+0+2+0], v[vgprValuA_X3_I0+0+0+0+1], v[20:23]
 // Ci += Ai*Br
/*  mfmaIndex:62  */
v_mfma_f32_16x16x4_f32 v[0+0:3+0], v[vgprValuB_X2_I0+0+2+0+1], v199, v[0:3]
 // Cr += -Ai*Bi
/*  mfmaIndex:63  */
v_mfma_f32_16x16x4_f32 v[20+0:23+0], v[vgprValuB_X2_I0+0+2+0+1], v[vgprValuA_X3_I0+0+0+0], v[20:23]
 // Ci += Ar*Bi
/*  mfmaIndex:64  */
/* sched write - iter 3 writesPerItem=1 */
s_waitcnt vmcnt(0)                                 // lgkmcnt=-1 vmcnt=0wait for global read before writing to local
_ds_store_b128 v[vgprLocalWriteAddrB], v[vgprG2LB+0:vgprG2LB+0+3] offset:0 // lwoB_0_0_0_0 = (0*LSCB)*(MT1J+PAD) + (0*LSPB) = 0
v_mfma_f32_16x16x4_f32 v[4+0:7+0], v[vgprValuB_X2_I0+4+2+0], v[vgprValuA_X3_I0+0+0+0], v[4:7]
 // Cr += Ar*Br
/*  mfmaIndex:65  */
v_mfma_f32_16x16x4_f32 v[24+0:27+0], v[vgprValuB_X2_I0+4+2+0], v[vgprValuA_X3_I0+0+0+0+1], v[24:27]
 // Ci += Ai*Br
/*  mfmaIndex:66  */
v_mfma_f32_16x16x4_f32 v[4+0:7+0], v[vgprValuB_X2_I0+4+2+0+1], v199, v[4:7]
 // Cr += -Ai*Bi
/*  mfmaIndex:67  */
v_mfma_f32_16x16x4_f32 v[24+0:27+0], v[vgprValuB_X2_I0+4+2+0+1], v[vgprValuA_X3_I0+0+0+0], v[24:27]
 // Ci += Ar*Bi
/*  mfmaIndex:68  */
v_mfma_f32_16x16x4_f32 v[8+0:11+0], v[vgprValuB_X2_I0+8+2+0], v[vgprValuA_X3_I0+0+0+0], v[8:11]
 // Cr += Ar*Br
/*  mfmaIndex:69  */
v_mfma_f32_16x16x4_f32 v[28+0:31+0], v[vgprValuB_X2_I0+8+2+0], v[vgprValuA_X3_I0+0+0+0+1], v[28:31]
 // Ci += Ai*Br
/*  mfmaIndex:70  */
v_mfma_f32_16x16x4_f32 v[8+0:11+0], v[vgprValuB_X2_I0+8+2+0+1], v199, v[8:11]
 // Cr += -Ai*Bi
/*  mfmaIndex:71  */
v_mfma_f32_16x16x4_f32 v[28+0:31+0], v[vgprValuB_X2_I0+8+2+0+1], v[vgprValuA_X3_I0+0+0+0], v[28:31]
 // Ci += Ar*Bi
/*  mfmaIndex:72  */
v_mfma_f32_16x16x4_f32 v[12+0:15+0], v[vgprValuB_X2_I0+12+2+0], v[vgprValuA_X3_I0+0+0+0], v[12:15]
 // Cr += Ar*Br
/*  mfmaIndex:73  */
/* sched write - iter 3 writesPerItem=1 */
s_waitcnt vmcnt(0)                                 // lgkmcnt=-1 vmcnt=0wait for global read before writing to local
_ds_store_b128 v[vgprLocalWriteAddrB], v[vgprG2LB+4:vgprG2LB+4+3] offset:4352 // lwoB_0_0_1_0 = (0*LSCB)*(MT1J+PAD) + (1*LSPB) = 4352
v_mfma_f32_16x16x4_f32 v[32+0:35+0], v[vgprValuB_X2_I0+12+2+0], v[vgprValuA_X3_I0+0+0+0+1], v[32:35]
 // Ci += Ai*Br
/*  mfmaIndex:74  */
v_mfma_f32_16x16x4_f32 v[12+0:15+0], v[vgprValuB_X2_I0+12+2+0+1], v199, v[12:15]
 // Cr += -Ai*Bi
/*  mfmaIndex:75  */
v_mfma_f32_16x16x4_f32 v[32+0:35+0], v[vgprValuB_X2_I0+12+2+0+1], v[vgprValuA_X3_I0+0+0+0], v[32:35]
 // Ci += Ar*Bi
/*  mfmaIndex:76  */
v_mfma_f32_16x16x4_f32 v[16+0:19+0], v[vgprValuB_X2_I0+16+2+0], v[vgprValuA_X3_I0+0+0+0], v[16:19]
 // Cr += Ar*Br
/*  mfmaIndex:77  */
v_mfma_f32_16x16x4_f32 v[36+0:39+0], v[vgprValuB_X2_I0+16+2+0], v[vgprValuA_X3_I0+0+0+0+1], v[36:39]
 // Ci += Ai*Br
/*  mfmaIndex:78  */
v_mfma_f32_16x16x4_f32 v[16+0:19+0], v[vgprValuB_X2_I0+16+2+0+1], v199, v[16:19]
 // Cr += -Ai*Bi
/*  mfmaIndex:79  */
v_mfma_f32_16x16x4_f32 v[36+0:39+0], v[vgprValuB_X2_I0+16+2+0+1], v[vgprValuA_X3_I0+0+0+0], v[36:39]
 // Ci += Ar*Bi


/* iter 4 */

/*  grEndMfmaIndex:4, lwStartMfmaIndex:28, lwEndMfmaIndex:147  */
/*  numMfmaForLR:10, barrierMfmaIndex:149, LocalWritePerMfma:0.110 */
/*  mfmaIndex:80  */
v_add_f32 v199, -v[vgprValuA_X4_I0+0+0+0+1], 0     // Ai=-Ai
v_mfma_f32_16x16x4_f32 v[0+0:3+0], v[vgprValuB_X4_I0+0+0+0], v[vgprValuA_X4_I0+0+0+0], v[0:3]
 // Cr += Ar*Br
/*  mfmaIndex:81  */
v_mfma_f32_16x16x4_f32 v[20+0:23+0], v[vgprValuB_X4_I0+0+0+0], v[vgprValuA_X4_I0+0+0+0+1], v[20:23]
 // Ci += Ai*Br
/*  mfmaIndex:82  */
/* sched write - iter 4 writesPerItem=1 */
s_waitcnt vmcnt(0)                                 // lgkmcnt=-1 vmcnt=0wait for global read before writing to local
_ds_store_b128 v[vgprLocalWriteAddrB], v[vgprG2LB+8:vgprG2LB+8+3] offset:8704 // lwoB_0_0_2_0 = (0*LSCB)*(MT1J+PAD) + (2*LSPB) = 8704
v_mfma_f32_16x16x4_f32 v[0+0:3+0], v[vgprValuB_X4_I0+0+0+0+1], v199, v[0:3]
 // Cr += -Ai*Bi
/*  mfmaIndex:83  */
v_mfma_f32_16x16x4_f32 v[20+0:23+0], v[vgprValuB_X4_I0+0+0+0+1], v[vgprValuA_X4_I0+0+0+0], v[20:23]
 // Ci += Ar*Bi
/*  mfmaIndex:84  */
v_mfma_f32_16x16x4_f32 v[4+0:7+0], v[vgprValuB_X4_I0+4+0+0], v[vgprValuA_X4_I0+0+0+0], v[4:7]
 // Cr += Ar*Br
/*  mfmaIndex:85  */
v_mfma_f32_16x16x4_f32 v[24+0:27+0], v[vgprValuB_X4_I0+4+0+0], v[vgprValuA_X4_I0+0+0+0+1], v[24:27]
 // Ci += Ai*Br
/*  mfmaIndex:86  */
v_mfma_f32_16x16x4_f32 v[4+0:7+0], v[vgprValuB_X4_I0+4+0+0+1], v199, v[4:7]
 // Cr += -Ai*Bi
/*  mfmaIndex:87  */
v_mfma_f32_16x16x4_f32 v[24+0:27+0], v[vgprValuB_X4_I0+4+0+0+1], v[vgprValuA_X4_I0+0+0+0], v[24:27]
 // Ci += Ar*Bi
/*  mfmaIndex:88  */
v_mfma_f32_16x16x4_f32 v[8+0:11+0], v[vgprValuB_X4_I0+8+0+0], v[vgprValuA_X4_I0+0+0+0], v[8:11]
 // Cr += Ar*Br
/*  mfmaIndex:89  */
v_mfma_f32_16x16x4_f32 v[28+0:31+0], v[vgprValuB_X4_I0+8+0+0], v[vgprValuA_X4_I0+0+0+0+1], v[28:31]
 // Ci += Ai*Br
/*  mfmaIndex:90  */
v_mfma_f32_16x16x4_f32 v[8+0:11+0], v[vgprValuB_X4_I0+8+0+0+1], v199, v[8:11]
 // Cr += -Ai*Bi
/*  mfmaIndex:91  */
/* sched write - iter 4 writesPerItem=1 */
s_waitcnt vmcnt(0)                                 // lgkmcnt=-1 vmcnt=0wait for global read before writing to local
_ds_store_b128 v[vgprLocalWriteAddrB], v[vgprG2LB+12:vgprG2LB+12+3] offset:13056 // lwoB_0_0_3_0 = (0*LSCB)*(MT1J+PAD) + (3*LSPB) = 13056
v_mfma_f32_16x16x4_f32 v[28+0:31+0], v[vgprValuB_X4_I0+8+0+0+1], v[vgprValuA_X4_I0+0+0+0], v[28:31]
 // Ci += Ar*Bi
/*  mfmaIndex:92  */
v_mfma_f32_16x16x4_f32 v[12+0:15+0], v[vgprValuB_X4_I0+12+0+0], v[vgprValuA_X4_I0+0+0+0], v[12:15]
 // Cr += Ar*Br
/*  mfmaIndex:93  */
v_mfma_f32_16x16x4_f32 v[32+0:35+0], v[vgprValuB_X4_I0+12+0+0], v[vgprValuA_X4_I0+0+0+0+1], v[32:35]
 // Ci += Ai*Br
/*  mfmaIndex:94  */
v_mfma_f32_16x16x4_f32 v[12+0:15+0], v[vgprValuB_X4_I0+12+0+0+1], v199, v[12:15]
 // Cr += -Ai*Bi
/*  mfmaIndex:95  */
v_mfma_f32_16x16x4_f32 v[32+0:35+0], v[vgprValuB_X4_I0+12+0+0+1], v[vgprValuA_X4_I0+0+0+0], v[32:35]
 // Ci += Ar*Bi
/*  mfmaIndex:96  */
v_mfma_f32_16x16x4_f32 v[16+0:19+0], v[vgprValuB_X4_I0+16+0+0], v[vgprValuA_X4_I0+0+0+0], v[16:19]
 // Cr += Ar*Br
/*  mfmaIndex:97  */
v_mfma_f32_16x16x4_f32 v[36+0:39+0], v[vgprValuB_X4_I0+16+0+0], v[vgprValuA_X4_I0+0+0+0+1], v[36:39]
 // Ci += Ai*Br
/*  mfmaIndex:98  */
v_mfma_f32_16x16x4_f32 v[16+0:19+0], v[vgprValuB_X4_I0+16+0+0+1], v199, v[16:19]
 // Cr += -Ai*Bi
/*  mfmaIndex:99  */
v_mfma_f32_16x16x4_f32 v[36+0:39+0], v[vgprValuB_X4_I0+16+0+0+1], v[vgprValuA_X4_I0+0+0+0], v[36:39]
 // Ci += Ar*Bi


/* iter 5 */

/*  grEndMfmaIndex:4, lwStartMfmaIndex:28, lwEndMfmaIndex:147  */
/*  numMfmaForLR:10, barrierMfmaIndex:149, LocalWritePerMfma:0.110 */
/*  mfmaIndex:100  */
/* sched write - iter 5 writesPerItem=1 */
s_waitcnt vmcnt(0)                                 // lgkmcnt=-1 vmcnt=0wait for global read before writing to local
_ds_store_b128 v[vgprLocalWriteAddrB], v[vgprG2LB+16:vgprG2LB+16+3] offset:17408 // lwoB_0_0_4_0 = (0*LSCB)*(MT1J+PAD) + (4*LSPB) = 17408
v_add_f32 v199, -v[vgprValuA_X5_I0+0+0+0+1], 0     // Ai=-Ai
v_mfma_f32_16x16x4_f32 v[0+0:3+0], v[vgprValuB_X4_I0+0+2+0], v[vgprValuA_X5_I0+0+0+0], v[0:3]
 // Cr += Ar*Br
/*  mfmaIndex:101  */
v_mfma_f32_16x16x4_f32 v[20+0:23+0], v[vgprValuB_X4_I0+0+2+0], v[vgprValuA_X5_I0+0+0+0+1], v[20:23]
 // Ci += Ai*Br
/*  mfmaIndex:102  */
v_mfma_f32_16x16x4_f32 v[0+0:3+0], v[vgprValuB_X4_I0+0+2+0+1], v199, v[0:3]
 // Cr += -Ai*Bi
/*  mfmaIndex:103  */
v_mfma_f32_16x16x4_f32 v[20+0:23+0], v[vgprValuB_X4_I0+0+2+0+1], v[vgprValuA_X5_I0+0+0+0], v[20:23]
 // Ci += Ar*Bi
/*  mfmaIndex:104  */
v_mfma_f32_16x16x4_f32 v[4+0:7+0], v[vgprValuB_X4_I0+4+2+0], v[vgprValuA_X5_I0+0+0+0], v[4:7]
 // Cr += Ar*Br
/*  mfmaIndex:105  */
v_mfma_f32_16x16x4_f32 v[24+0:27+0], v[vgprValuB_X4_I0+4+2+0], v[vgprValuA_X5_I0+0+0+0+1], v[24:27]
 // Ci += Ai*Br
/*  mfmaIndex:106  */
v_mfma_f32_16x16x4_f32 v[4+0:7+0], v[vgprValuB_X4_I0+4+2+0+1], v199, v[4:7]
 // Cr += -Ai*Bi
/*  mfmaIndex:107  */
v_mfma_f32_16x16x4_f32 v[24+0:27+0], v[vgprValuB_X4_I0+4+2+0+1], v[vgprValuA_X5_I0+0+0+0], v[24:27]
 // Ci += Ar*Bi
/*  mfmaIndex:108  */
v_mfma_f32_16x16x4_f32 v[8+0:11+0], v[vgprValuB_X4_I0+8+2+0], v[vgprValuA_X5_I0+0+0+0], v[8:11]
 // Cr += Ar*Br
/*  mfmaIndex:109  */
/* sched write - iter 5 writesPerItem=1 */
s_waitcnt vmcnt(0)                                 // lgkmcnt=-1 vmcnt=0wait for global read before writing to local
_ds_store_b128 v[vgprLocalWriteAddrB], v[vgprG2LB+20:vgprG2LB+20+3] offset:21760 // lwoB_0_0_5_0 = (0*LSCB)*(MT1J+PAD) + (5*LSPB) = 21760
v_mfma_f32_16x16x4_f32 v[28+0:31+0], v[vgprValuB_X4_I0+8+2+0], v[vgprValuA_X5_I0+0+0+0+1], v[28:31]
 // Ci += Ai*Br
/*  mfmaIndex:110  */
v_mfma_f32_16x16x4_f32 v[8+0:11+0], v[vgprValuB_X4_I0+8+2+0+1], v199, v[8:11]
 // Cr += -Ai*Bi
/*  mfmaIndex:111  */
v_mfma_f32_16x16x4_f32 v[28+0:31+0], v[vgprValuB_X4_I0+8+2+0+1], v[vgprValuA_X5_I0+0+0+0], v[28:31]
 // Ci += Ar*Bi
/*  mfmaIndex:112  */
v_mfma_f32_16x16x4_f32 v[12+0:15+0], v[vgprValuB_X4_I0+12+2+0], v[vgprValuA_X5_I0+0+0+0], v[12:15]
 // Cr += Ar*Br
/*  mfmaIndex:113  */
v_mfma_f32_16x16x4_f32 v[32+0:35+0], v[vgprValuB_X4_I0+12+2+0], v[vgprValuA_X5_I0+0+0+0+1], v[32:35]
 // Ci += Ai*Br
/*  mfmaIndex:114  */
v_mfma_f32_16x16x4_f32 v[12+0:15+0], v[vgprValuB_X4_I0+12+2+0+1], v199, v[12:15]
 // Cr += -Ai*Bi
/*  mfmaIndex:115  */
v_mfma_f32_16x16x4_f32 v[32+0:35+0], v[vgprValuB_X4_I0+12+2+0+1], v[vgprValuA_X5_I0+0+0+0], v[32:35]
 // Ci += Ar*Bi
/*  mfmaIndex:116  */
v_mfma_f32_16x16x4_f32 v[16+0:19+0], v[vgprValuB_X4_I0+16+2+0], v[vgprValuA_X5_I0+0+0+0], v[16:19]
 // Cr += Ar*Br
/*  mfmaIndex:117  */
v_mfma_f32_16x16x4_f32 v[36+0:39+0], v[vgprValuB_X4_I0+16+2+0], v[vgprValuA_X5_I0+0+0+0+1], v[36:39]
 // Ci += Ai*Br
/*  mfmaIndex:118  */
/* sched write - iter 5 writesPerItem=1 */
s_waitcnt vmcnt(0)                                 // lgkmcnt=-1 vmcnt=0wait for global read before writing to local
_ds_store_b128 v[vgprLocalWriteAddrB], v[vgprG2LB+24:vgprG2LB+24+3] offset:26112 // lwoB_0_0_6_0 = (0*LSCB)*(MT1J+PAD) + (6*LSPB) = 26112
v_mfma_f32_16x16x4_f32 v[16+0:19+0], v[vgprValuB_X4_I0+16+2+0+1], v199, v[16:19]
 // Cr += -Ai*Bi
/*  mfmaIndex:119  */
v_mfma_f32_16x16x4_f32 v[36+0:39+0], v[vgprValuB_X4_I0+16+2+0+1], v[vgprValuA_X5_I0+0+0+0], v[36:39]
 // Ci += Ar*Bi


/* iter 6 (reset local read pointers iteration)  (swap local read pointers iteration)  */

/*  grEndMfmaIndex:4, lwStartMfmaIndex:28, lwEndMfmaIndex:147  */
/*  numMfmaForLR:10, barrierMfmaIndex:149, LocalWritePerMfma:0.110 */
/*  mfmaIndex:120  */
v_add_f32 v199, -v[vgprValuA_X6_I0+0+0+0+1], 0     // Ai=-Ai
v_mfma_f32_16x16x4_f32 v[0+0:3+0], v[vgprValuB_X6_I0+0+0+0], v[vgprValuA_X6_I0+0+0+0], v[0:3]
 // Cr += Ar*Br
/*  mfmaIndex:121  */
v_mfma_f32_16x16x4_f32 v[20+0:23+0], v[vgprValuB_X6_I0+0+0+0], v[vgprValuA_X6_I0+0+0+0+1], v[20:23]
 // Ci += Ai*Br
/*  mfmaIndex:122  */
v_mfma_f32_16x16x4_f32 v[0+0:3+0], v[vgprValuB_X6_I0+0+0+0+1], v199, v[0:3]
 // Cr += -Ai*Bi
/*  mfmaIndex:123  */
v_mfma_f32_16x16x4_f32 v[20+0:23+0], v[vgprValuB_X6_I0+0+0+0+1], v[vgprValuA_X6_I0+0+0+0], v[20:23]
 // Ci += Ar*Bi
/*  mfmaIndex:124  */
v_mfma_f32_16x16x4_f32 v[4+0:7+0], v[vgprValuB_X6_I0+4+0+0], v[vgprValuA_X6_I0+0+0+0], v[4:7]
 // Cr += Ar*Br
/*  mfmaIndex:125  */
v_mfma_f32_16x16x4_f32 v[24+0:27+0], v[vgprValuB_X6_I0+4+0+0], v[vgprValuA_X6_I0+0+0+0+1], v[24:27]
 // Ci += Ai*Br
/*  mfmaIndex:126  */
v_mfma_f32_16x16x4_f32 v[4+0:7+0], v[vgprValuB_X6_I0+4+0+0+1], v199, v[4:7]
 // Cr += -Ai*Bi
/*  mfmaIndex:127  */
v_mfma_f32_16x16x4_f32 v[24+0:27+0], v[vgprValuB_X6_I0+4+0+0+1], v[vgprValuA_X6_I0+0+0+0], v[24:27]
 // Ci += Ar*Bi
/*  mfmaIndex:128  */
/* sched write - iter 6 writesPerItem=1 */
s_waitcnt vmcnt(0)                                 // lgkmcnt=-1 vmcnt=0wait for global read before writing to local
_ds_store_b128 v[vgprLocalWriteAddrB], v[vgprG2LB+28:vgprG2LB+28+3] offset:30464 // lwoB_0_0_7_0 = (0*LSCB)*(MT1J+PAD) + (7*LSPB) = 30464
v_mfma_f32_16x16x4_f32 v[8+0:11+0], v[vgprValuB_X6_I0+8+0+0], v[vgprValuA_X6_I0+0+0+0], v[8:11]
 // Cr += Ar*Br
/*  mfmaIndex:129  */
v_mfma_f32_16x16x4_f32 v[28+0:31+0], v[vgprValuB_X6_I0+8+0+0], v[vgprValuA_X6_I0+0+0+0+1], v[28:31]
 // Ci += Ai*Br
/*  mfmaIndex:130  */
v_mfma_f32_16x16x4_f32 v[8+0:11+0], v[vgprValuB_X6_I0+8+0+0+1], v199, v[8:11]
 // Cr += -Ai*Bi
/*  mfmaIndex:131  */
v_mfma_f32_16x16x4_f32 v[28+0:31+0], v[vgprValuB_X6_I0+8+0+0+1], v[vgprValuA_X6_I0+0+0+0], v[28:31]
 // Ci += Ar*Bi
/*  mfmaIndex:132  */
v_mfma_f32_16x16x4_f32 v[12+0:15+0], v[vgprValuB_X6_I0+12+0+0], v[vgprValuA_X6_I0+0+0+0], v[12:15]
 // Cr += Ar*Br
/*  mfmaIndex:133  */
v_mfma_f32_16x16x4_f32 v[32+0:35+0], v[vgprValuB_X6_I0+12+0+0], v[vgprValuA_X6_I0+0+0+0+1], v[32:35]
 // Ci += Ai*Br
/*  mfmaIndex:134  */
v_mfma_f32_16x16x4_f32 v[12+0:15+0], v[vgprValuB_X6_I0+12+0+0+1], v199, v[12:15]
 // Cr += -Ai*Bi
/*  mfmaIndex:135  */
v_mfma_f32_16x16x4_f32 v[32+0:35+0], v[vgprValuB_X6_I0+12+0+0+1], v[vgprValuA_X6_I0+0+0+0], v[32:35]
 // Ci += Ar*Bi
/*  mfmaIndex:136  */
v_mfma_f32_16x16x4_f32 v[16+0:19+0], v[vgprValuB_X6_I0+16+0+0], v[vgprValuA_X6_I0+0+0+0], v[16:19]
 // Cr += Ar*Br
/*  mfmaIndex:137  */
/* sched write - iter 6 writesPerItem=1 */
s_waitcnt vmcnt(0)                                 // lgkmcnt=-1 vmcnt=0wait for global read before writing to local
_ds_store_b128 v[vgprLocalWriteAddrB], v[vgprG2LB+32:vgprG2LB+32+3] offset:34816 // lwoB_0_0_8_0 = (0*LSCB)*(MT1J+PAD) + (8*LSPB) = 34816
v_mfma_f32_16x16x4_f32 v[36+0:39+0], v[vgprValuB_X6_I0+16+0+0], v[vgprValuA_X6_I0+0+0+0+1], v[36:39]
 // Ci += Ai*Br
/*  mfmaIndex:138  */
v_mfma_f32_16x16x4_f32 v[16+0:19+0], v[vgprValuB_X6_I0+16+0+0+1], v199, v[16:19]
 // Cr += -Ai*Bi
/*  mfmaIndex:139  */

/* local read swap offsets a */

/* local read swap offsets b */

/* local read init pointers a */

/* localReadInitPointers */

/* local read init pointers b */

/* localReadInitPointers */
v_mfma_f32_16x16x4_f32 v[36+0:39+0], v[vgprValuB_X6_I0+16+0+0+1], v[vgprValuA_X6_I0+0+0+0], v[36:39]
 // Ci += Ar*Bi


/* iter 7 (swap and reset local write pointers iteration)  */

/*  grEndMfmaIndex:4, lwStartMfmaIndex:28, lwEndMfmaIndex:147  */
/*  numMfmaForLR:10, barrierMfmaIndex:149, LocalWritePerMfma:0.110 */
/*  mfmaIndex:140  */
v_add_f32 v199, -v[vgprValuA_X7_I0+0+0+0+1], 0     // Ai=-Ai
v_mfma_f32_16x16x4_f32 v[0+0:3+0], v[vgprValuB_X6_I0+0+2+0], v[vgprValuA_X7_I0+0+0+0], v[0:3]
 // Cr += Ar*Br
/*  mfmaIndex:141  */
v_mfma_f32_16x16x4_f32 v[20+0:23+0], v[vgprValuB_X6_I0+0+2+0], v[vgprValuA_X7_I0+0+0+0+1], v[20:23]
 // Ci += Ai*Br
/*  mfmaIndex:142  */
v_mfma_f32_16x16x4_f32 v[0+0:3+0], v[vgprValuB_X6_I0+0+2+0+1], v199, v[0:3]
 // Cr += -Ai*Bi
/*  mfmaIndex:143  */
v_mfma_f32_16x16x4_f32 v[20+0:23+0], v[vgprValuB_X6_I0+0+2+0+1], v[vgprValuA_X7_I0+0+0+0], v[20:23]
 // Ci += Ar*Bi
/*  mfmaIndex:144  */
v_mfma_f32_16x16x4_f32 v[4+0:7+0], v[vgprValuB_X6_I0+4+2+0], v[vgprValuA_X7_I0+0+0+0], v[4:7]
 // Cr += Ar*Br
/*  mfmaIndex:145  */
v_mfma_f32_16x16x4_f32 v[24+0:27+0], v[vgprValuB_X6_I0+4+2+0], v[vgprValuA_X7_I0+0+0+0+1], v[24:27]
 // Ci += Ai*Br
/*  mfmaIndex:146  */
/* sched write - iter 7 writesPerItem=1 */
s_waitcnt vmcnt(0)                                 // lgkmcnt=-1 vmcnt=0wait for global read before writing to local
_ds_store_b128 v[vgprLocalWriteAddrB], v[vgprG2LB+36:vgprG2LB+36+3] offset:39168 // lwoB_0_0_9_0 = (0*LSCB)*(MT1J+PAD) + (9*LSPB) = 39168
v_mfma_f32_16x16x4_f32 v[4+0:7+0], v[vgprValuB_X6_I0+4+2+0+1], v199, v[4:7]
 // Cr += -Ai*Bi
/*  mfmaIndex:147  */

/* local write swap offsets a */

/* local write swap offsets b */
v_mfma_f32_16x16x4_f32 v[24+0:27+0], v[vgprValuB_X6_I0+4+2+0+1], v[vgprValuA_X7_I0+0+0+0], v[24:27]
 // Ci += Ar*Bi
/*  mfmaIndex:148  */
v_mfma_f32_16x16x4_f32 v[8+0:11+0], v[vgprValuB_X6_I0+8+2+0], v[vgprValuA_X7_I0+0+0+0], v[8:11]
 // Cr += Ar*Br
/*  mfmaIndex:149  */
s_waitcnt lgkmcnt(0)                               // lgkmcnt=0 vmcnt=-13wait for local write
// Skip force waitcnt0
s_barrier //
v_mfma_f32_16x16x4_f32 v[28+0:31+0], v[vgprValuB_X6_I0+8+2+0], v[vgprValuA_X7_I0+0+0+0+1], v[28:31]
 // Ci += Ai*Br
/*  mfmaIndex:150  */
_ds_load_b64 v[vgprValuA_X0_I0+0:vgprValuA_X0_I0+0+1], v[vgprLocalReadAddrA] offset:0 // L -> Reg lro=0 swapByteOffset=0 ti=32 vIdx=0 rIdx=0 oIdx=0 buffer=0 iui=0
v_mfma_f32_16x16x4_f32 v[8+0:11+0], v[vgprValuB_X6_I0+8+2+0+1], v199, v[8:11]
 // Cr += -Ai*Bi
/*  mfmaIndex:151  */
_ds_load_b128 v[vgprValuB_X0_I0+0:vgprValuB_X0_I0+0+3], v[vgprLocalReadAddrB] offset:0 // L -> Reg lro=0 swapByteOffset=0 ti=16 vIdx=0 rIdx=0 oIdx=0 buffer=0 iui=0
v_mfma_f32_16x16x4_f32 v[28+0:31+0], v[vgprValuB_X6_I0+8+2+0+1], v[vgprValuA_X7_I0+0+0+0], v[28:31]
 // Ci += Ar*Bi
/*  mfmaIndex:152  */
_ds_load_b128 v[vgprValuB_X0_I0+4:vgprValuB_X0_I0+4+3], v[vgprLocalReadAddrB] offset:8704 // L -> Reg lro=0 swapByteOffset=0 ti=16 vIdx=1 rIdx=0 oIdx=0 buffer=0 iui=0
v_mfma_f32_16x16x4_f32 v[12+0:15+0], v[vgprValuB_X6_I0+12+2+0], v[vgprValuA_X7_I0+0+0+0], v[12:15]
 // Cr += Ar*Br
/*  mfmaIndex:153  */
_ds_load_b128 v[vgprValuB_X0_I0+8:vgprValuB_X0_I0+8+3], v[vgprLocalReadAddrB] offset:17408 // L -> Reg lro=0 swapByteOffset=0 ti=16 vIdx=2 rIdx=0 oIdx=0 buffer=0 iui=0
v_mfma_f32_16x16x4_f32 v[32+0:35+0], v[vgprValuB_X6_I0+12+2+0], v[vgprValuA_X7_I0+0+0+0+1], v[32:35]
 // Ci += Ai*Br
/*  mfmaIndex:154  */
_ds_load_b128 v[vgprValuB_X0_I0+12:vgprValuB_X0_I0+12+3], v[vgprLocalReadAddrB] offset:26112 // L -> Reg lro=0 swapByteOffset=0 ti=16 vIdx=3 rIdx=0 oIdx=0 buffer=0 iui=0
v_mfma_f32_16x16x4_f32 v[12+0:15+0], v[vgprValuB_X6_I0+12+2+0+1], v199, v[12:15]
 // Cr += -Ai*Bi
/*  mfmaIndex:155  */
_ds_load_b128 v[vgprValuB_X0_I0+16:vgprValuB_X0_I0+16+3], v[vgprLocalReadAddrB] offset:34816 // L -> Reg lro=0 swapByteOffset=0 ti=16 vIdx=4 rIdx=0 oIdx=0 buffer=0 iui=0
v_mfma_f32_16x16x4_f32 v[32+0:35+0], v[vgprValuB_X6_I0+12+2+0+1], v[vgprValuA_X7_I0+0+0+0], v[32:35]
 // Ci += Ar*Bi
/*  mfmaIndex:156  */
v_mfma_f32_16x16x4_f32 v[16+0:19+0], v[vgprValuB_X6_I0+16+2+0], v[vgprValuA_X7_I0+0+0+0], v[16:19]
 // Cr += Ar*Br
/*  mfmaIndex:157  */
v_mfma_f32_16x16x4_f32 v[36+0:39+0], v[vgprValuB_X6_I0+16+2+0], v[vgprValuA_X7_I0+0+0+0+1], v[36:39]
 // Ci += Ai*Br
/*  mfmaIndex:158  */
v_mfma_f32_16x16x4_f32 v[16+0:19+0], v[vgprValuB_X6_I0+16+2+0+1], v199, v[16:19]
 // Cr += -Ai*Bi
/*  mfmaIndex:159  */
v_mfma_f32_16x16x4_f32 v[36+0:39+0], v[vgprValuB_X6_I0+16+2+0+1], v[vgprValuA_X7_I0+0+0+0], v[36:39]
 // Ci += Ar*Bi

label_0014:


/******************************************/
/* Ord. NoLoadLoop - Begin                                      */
/******************************************/


	;; [unrolled: 1-line block ×4, first 2 shown]
/* iter 0 (last unrolled loop) */

/*  grEndMfmaIndex:0, lwStartMfmaIndex:147, lwEndMfmaIndex:147  */
/*  numMfmaForLR:10, barrierMfmaIndex:149, LocalWritePerMfma:0.110 */
/*  mfmaIndex:0  */
s_waitcnt lgkmcnt(0)                               // lgkmcnt=0 vmcnt=-1wait for prior local read local write old=0, new=0 newLW=0 newLR=0
v_add_f32 v199, -v[vgprValuA_X0_I0+0+0+0+1], 0     // Ai=-Ai
v_mfma_f32_16x16x4_f32 v[0+0:3+0], v[vgprValuB_X0_I0+0+0+0], v[vgprValuA_X0_I0+0+0+0], v[0:3]
 // Cr += Ar*Br
/*  mfmaIndex:1  */
_ds_load_b64 v[vgprValuA_X1_I0+0:vgprValuA_X1_I0+0+1], v[vgprLocalReadAddrA] offset:256 // L -> Reg lro=32 swapByteOffset=0 ti=32 vIdx=0 rIdx=0 oIdx=0 buffer=1 iui=0
v_mfma_f32_16x16x4_f32 v[20+0:23+0], v[vgprValuB_X0_I0+0+0+0], v[vgprValuA_X0_I0+0+0+0+1], v[20:23]
 // Ci += Ai*Br
/*  mfmaIndex:2  */
_ds_load_b128 v[vgprValuB_X2_I0+0:vgprValuB_X2_I0+0+3], v[vgprLocalReadAddrB] offset:128 // L -> Reg lro=16 swapByteOffset=0 ti=16 vIdx=0 rIdx=0 oIdx=0 buffer=2 iui=0
v_mfma_f32_16x16x4_f32 v[0+0:3+0], v[vgprValuB_X0_I0+0+0+0+1], v199, v[0:3]
 // Cr += -Ai*Bi
/*  mfmaIndex:3  */
_ds_load_b128 v[vgprValuB_X2_I0+4:vgprValuB_X2_I0+4+3], v[vgprLocalReadAddrB] offset:8832 // L -> Reg lro=16 swapByteOffset=0 ti=16 vIdx=1 rIdx=0 oIdx=0 buffer=2 iui=0
v_mfma_f32_16x16x4_f32 v[20+0:23+0], v[vgprValuB_X0_I0+0+0+0+1], v[vgprValuA_X0_I0+0+0+0], v[20:23]
 // Ci += Ar*Bi
/*  mfmaIndex:4  */
_ds_load_b128 v[vgprValuB_X2_I0+8:vgprValuB_X2_I0+8+3], v[vgprLocalReadAddrB] offset:17536 // L -> Reg lro=16 swapByteOffset=0 ti=16 vIdx=2 rIdx=0 oIdx=0 buffer=2 iui=0
v_mfma_f32_16x16x4_f32 v[4+0:7+0], v[vgprValuB_X0_I0+4+0+0], v[vgprValuA_X0_I0+0+0+0], v[4:7]
 // Cr += Ar*Br
/*  mfmaIndex:5  */
_ds_load_b128 v[vgprValuB_X2_I0+12:vgprValuB_X2_I0+12+3], v[vgprLocalReadAddrB] offset:26240 // L -> Reg lro=16 swapByteOffset=0 ti=16 vIdx=3 rIdx=0 oIdx=0 buffer=2 iui=0
v_mfma_f32_16x16x4_f32 v[24+0:27+0], v[vgprValuB_X0_I0+4+0+0], v[vgprValuA_X0_I0+0+0+0+1], v[24:27]
 // Ci += Ai*Br
/*  mfmaIndex:6  */
_ds_load_b128 v[vgprValuB_X2_I0+16:vgprValuB_X2_I0+16+3], v[vgprLocalReadAddrB] offset:34944 // L -> Reg lro=16 swapByteOffset=0 ti=16 vIdx=4 rIdx=0 oIdx=0 buffer=2 iui=0
/* localReadsVacancy: latencyLeft 1 */
v_mfma_f32_16x16x4_f32 v[4+0:7+0], v[vgprValuB_X0_I0+4+0+0+1], v199, v[4:7]
 // Cr += -Ai*Bi
/*  mfmaIndex:7  */
/* localReadsVacancy: latencyLeft 5 */
_ds_load_b64 v[vgprValuA_X2_I0+0:vgprValuA_X2_I0+0+1], v[vgprLocalReadAddrA] offset:4096 // L -> Reg lro=512 swapByteOffset=0 ti=32 vIdx=0 rIdx=0 oIdx=0 buffer=2 iui=0
v_mfma_f32_16x16x4_f32 v[24+0:27+0], v[vgprValuB_X0_I0+4+0+0+1], v[vgprValuA_X0_I0+0+0+0], v[24:27]
 // Ci += Ar*Bi
/*  mfmaIndex:8  */
/* localReadsVacancy: latencyLeft 5 */
_ds_load_b128 v[vgprValuB_X4_I0+0:vgprValuB_X4_I0+0+3], v[vgprLocalReadAddrB] offset:256 // L -> Reg lro=32 swapByteOffset=0 ti=16 vIdx=0 rIdx=0 oIdx=0 buffer=4 iui=0
v_mfma_f32_16x16x4_f32 v[8+0:11+0], v[vgprValuB_X0_I0+8+0+0], v[vgprValuA_X0_I0+0+0+0], v[8:11]
 // Cr += Ar*Br
/*  mfmaIndex:9  */
/* localReadsVacancy: latencyLeft 5 */
_ds_load_b128 v[vgprValuB_X4_I0+4:vgprValuB_X4_I0+4+3], v[vgprLocalReadAddrB] offset:8960 // L -> Reg lro=32 swapByteOffset=0 ti=16 vIdx=1 rIdx=0 oIdx=0 buffer=4 iui=0
v_mfma_f32_16x16x4_f32 v[28+0:31+0], v[vgprValuB_X0_I0+8+0+0], v[vgprValuA_X0_I0+0+0+0+1], v[28:31]
 // Ci += Ai*Br
/*  mfmaIndex:10  */
/* localReadsVacancy: latencyLeft 5 */
_ds_load_b128 v[vgprValuB_X4_I0+8:vgprValuB_X4_I0+8+3], v[vgprLocalReadAddrB] offset:17664 // L -> Reg lro=32 swapByteOffset=0 ti=16 vIdx=2 rIdx=0 oIdx=0 buffer=4 iui=0
v_mfma_f32_16x16x4_f32 v[8+0:11+0], v[vgprValuB_X0_I0+8+0+0+1], v199, v[8:11]
 // Cr += -Ai*Bi
/*  mfmaIndex:11  */
/* localReadsVacancy: latencyLeft 5 */
_ds_load_b128 v[vgprValuB_X4_I0+12:vgprValuB_X4_I0+12+3], v[vgprLocalReadAddrB] offset:26368 // L -> Reg lro=32 swapByteOffset=0 ti=16 vIdx=3 rIdx=0 oIdx=0 buffer=4 iui=0
v_mfma_f32_16x16x4_f32 v[28+0:31+0], v[vgprValuB_X0_I0+8+0+0+1], v[vgprValuA_X0_I0+0+0+0], v[28:31]
 // Ci += Ar*Bi
/*  mfmaIndex:12  */
/* localReadsVacancy: latencyLeft 5 */
_ds_load_b128 v[vgprValuB_X4_I0+16:vgprValuB_X4_I0+16+3], v[vgprLocalReadAddrB] offset:35072 // L -> Reg lro=32 swapByteOffset=0 ti=16 vIdx=4 rIdx=0 oIdx=0 buffer=4 iui=0
v_mfma_f32_16x16x4_f32 v[12+0:15+0], v[vgprValuB_X0_I0+12+0+0], v[vgprValuA_X0_I0+0+0+0], v[12:15]
 // Cr += Ar*Br
/*  mfmaIndex:13  */
/* localReadsVacancy: latencyLeft 5 */
_ds_load_b64 v[vgprValuA_X3_I0+0:vgprValuA_X3_I0+0+1], v[vgprLocalReadAddrA] offset:4352 // L -> Reg lro=544 swapByteOffset=0 ti=32 vIdx=0 rIdx=0 oIdx=0 buffer=3 iui=0
v_mfma_f32_16x16x4_f32 v[32+0:35+0], v[vgprValuB_X0_I0+12+0+0], v[vgprValuA_X0_I0+0+0+0+1], v[32:35]
 // Ci += Ai*Br
/*  mfmaIndex:14  */
/* localReadsVacancy: latencyLeft 5 */
_ds_load_b128 v[vgprValuB_X6_I0+0:vgprValuB_X6_I0+0+3], v[vgprLocalReadAddrB] offset:384 // L -> Reg lro=48 swapByteOffset=0 ti=16 vIdx=0 rIdx=0 oIdx=0 buffer=6 iui=0
v_mfma_f32_16x16x4_f32 v[12+0:15+0], v[vgprValuB_X0_I0+12+0+0+1], v199, v[12:15]
 // Cr += -Ai*Bi
/*  mfmaIndex:15  */
/* localReadsVacancy: latencyLeft 5 */
_ds_load_b128 v[vgprValuB_X6_I0+4:vgprValuB_X6_I0+4+3], v[vgprLocalReadAddrB] offset:9088 // L -> Reg lro=48 swapByteOffset=0 ti=16 vIdx=1 rIdx=0 oIdx=0 buffer=6 iui=0
v_mfma_f32_16x16x4_f32 v[32+0:35+0], v[vgprValuB_X0_I0+12+0+0+1], v[vgprValuA_X0_I0+0+0+0], v[32:35]
 // Ci += Ar*Bi
/*  mfmaIndex:16  */
/* localReadsVacancy: latencyLeft 5 */
_ds_load_b128 v[vgprValuB_X6_I0+8:vgprValuB_X6_I0+8+3], v[vgprLocalReadAddrB] offset:17792 // L -> Reg lro=48 swapByteOffset=0 ti=16 vIdx=2 rIdx=0 oIdx=0 buffer=6 iui=0
v_mfma_f32_16x16x4_f32 v[16+0:19+0], v[vgprValuB_X0_I0+16+0+0], v[vgprValuA_X0_I0+0+0+0], v[16:19]
 // Cr += Ar*Br
/*  mfmaIndex:17  */
/* localReadsVacancy: latencyLeft 5 */
_ds_load_b128 v[vgprValuB_X6_I0+12:vgprValuB_X6_I0+12+3], v[vgprLocalReadAddrB] offset:26496 // L -> Reg lro=48 swapByteOffset=0 ti=16 vIdx=3 rIdx=0 oIdx=0 buffer=6 iui=0
v_mfma_f32_16x16x4_f32 v[36+0:39+0], v[vgprValuB_X0_I0+16+0+0], v[vgprValuA_X0_I0+0+0+0+1], v[36:39]
 // Ci += Ai*Br
/*  mfmaIndex:18  */
/* localReadsVacancy: latencyLeft 5 */
_ds_load_b128 v[vgprValuB_X6_I0+16:vgprValuB_X6_I0+16+3], v[vgprLocalReadAddrB] offset:35200 // L -> Reg lro=48 swapByteOffset=0 ti=16 vIdx=4 rIdx=0 oIdx=0 buffer=6 iui=0
v_mfma_f32_16x16x4_f32 v[16+0:19+0], v[vgprValuB_X0_I0+16+0+0+1], v199, v[16:19]
 // Cr += -Ai*Bi
/*  mfmaIndex:19  */
/* localReadsVacancy: latencyLeft 5 */
_ds_load_b64 v[vgprValuA_X4_I0+0:vgprValuA_X4_I0+0+1], v[vgprLocalReadAddrA] offset:8192 // L -> Reg lro=1024 swapByteOffset=0 ti=32 vIdx=0 rIdx=0 oIdx=0 buffer=4 iui=0
_ds_load_b64 v[vgprValuA_X5_I0+0:vgprValuA_X5_I0+0+1], v[vgprLocalReadAddrA] offset:8448 // L -> Reg lro=1056 swapByteOffset=0 ti=32 vIdx=0 rIdx=0 oIdx=0 buffer=5 iui=0
v_mfma_f32_16x16x4_f32 v[36+0:39+0], v[vgprValuB_X0_I0+16+0+0+1], v[vgprValuA_X0_I0+0+0+0], v[36:39]
 // Ci += Ar*Bi
/* numPrefetchIter=0 */
/* dataAtIterA=-1 numReadsIterA=1 skipReadsIterA=1 readsPerIterA=1 */
/* dataAtIterB=-1 numReadsIterB=1 skipReadsIterB=1 readsPerIterB=5 */


/* iter 1 (last unrolled loop) */

/*  grEndMfmaIndex:0, lwStartMfmaIndex:147, lwEndMfmaIndex:147  */
/*  numMfmaForLR:10, barrierMfmaIndex:149, LocalWritePerMfma:0.110 */
/*  mfmaIndex:20  */
/* localReadsVacancy: latencyLeft 5 */
_ds_load_b64 v[vgprValuA_X6_I0+0:vgprValuA_X6_I0+0+1], v[vgprLocalReadAddrA] offset:12288 // L -> Reg lro=1536 swapByteOffset=0 ti=32 vIdx=0 rIdx=0 oIdx=0 buffer=6 iui=0
_ds_load_b64 v[vgprValuA_X7_I0+0:vgprValuA_X7_I0+0+1], v[vgprLocalReadAddrA] offset:12544 // L -> Reg lro=1568 swapByteOffset=0 ti=32 vIdx=0 rIdx=0 oIdx=0 buffer=7 iui=0
s_waitcnt lgkmcnt(15)                              // lgkmcnt=0 vmcnt=-1wait for prior local read local write old=6, new=6 newLW=0 newLR=0
v_add_f32 v199, -v[vgprValuA_X1_I0+0+0+0+1], 0     // Ai=-Ai
v_mfma_f32_16x16x4_f32 v[0+0:3+0], v[vgprValuB_X0_I0+0+2+0], v[vgprValuA_X1_I0+0+0+0], v[0:3]
 // Cr += Ar*Br
/*  mfmaIndex:21  */
/* localReadsVacancy: latencyLeft 5 */
v_mfma_f32_16x16x4_f32 v[20+0:23+0], v[vgprValuB_X0_I0+0+2+0], v[vgprValuA_X1_I0+0+0+0+1], v[20:23]
 // Ci += Ai*Br
/*  mfmaIndex:22  */
/* localReadsVacancy: latencyLeft 5 */
v_mfma_f32_16x16x4_f32 v[0+0:3+0], v[vgprValuB_X0_I0+0+2+0+1], v199, v[0:3]
 // Cr += -Ai*Bi
/*  mfmaIndex:23  */
/* localReadsVacancy: latencyLeft 5 */
v_mfma_f32_16x16x4_f32 v[20+0:23+0], v[vgprValuB_X0_I0+0+2+0+1], v[vgprValuA_X1_I0+0+0+0], v[20:23]
 // Ci += Ar*Bi
/*  mfmaIndex:24  */
/* localReadsVacancy: latencyLeft 5 */
v_mfma_f32_16x16x4_f32 v[4+0:7+0], v[vgprValuB_X0_I0+4+2+0], v[vgprValuA_X1_I0+0+0+0], v[4:7]
 // Cr += Ar*Br
/*  mfmaIndex:25  */
/* localReadsVacancy: latencyLeft 5 */
v_mfma_f32_16x16x4_f32 v[24+0:27+0], v[vgprValuB_X0_I0+4+2+0], v[vgprValuA_X1_I0+0+0+0+1], v[24:27]
 // Ci += Ai*Br
/*  mfmaIndex:26  */
/* localReadsVacancy: latencyLeft 5 */
v_mfma_f32_16x16x4_f32 v[4+0:7+0], v[vgprValuB_X0_I0+4+2+0+1], v199, v[4:7]
 // Cr += -Ai*Bi
/*  mfmaIndex:27  */
/* localReadsVacancy: latencyLeft 5 */
v_mfma_f32_16x16x4_f32 v[24+0:27+0], v[vgprValuB_X0_I0+4+2+0+1], v[vgprValuA_X1_I0+0+0+0], v[24:27]
 // Ci += Ar*Bi
/*  mfmaIndex:28  */
/* localReadsVacancy: latencyLeft 5 */
	;; [unrolled: 16-line block ×4, first 2 shown]
v_mfma_f32_16x16x4_f32 v[16+0:19+0], v[vgprValuB_X0_I0+16+2+0], v[vgprValuA_X1_I0+0+0+0], v[16:19]
 // Cr += Ar*Br
/*  mfmaIndex:37  */
/* localReadsVacancy: latencyLeft 5 */
v_mfma_f32_16x16x4_f32 v[36+0:39+0], v[vgprValuB_X0_I0+16+2+0], v[vgprValuA_X1_I0+0+0+0+1], v[36:39]
 // Ci += Ai*Br
/*  mfmaIndex:38  */
/* localReadsVacancy: latencyLeft 5 */
v_mfma_f32_16x16x4_f32 v[16+0:19+0], v[vgprValuB_X0_I0+16+2+0+1], v199, v[16:19]
 // Cr += -Ai*Bi
/*  mfmaIndex:39  */
/* localReadsVacancy: latencyLeft 5 */
v_mfma_f32_16x16x4_f32 v[36+0:39+0], v[vgprValuB_X0_I0+16+2+0+1], v[vgprValuA_X1_I0+0+0+0], v[36:39]
 // Ci += Ar*Bi
/* numPrefetchIter=0 */
/* dataAtIterA=0 numReadsIterA=2 skipReadsIterA=1 readsPerIterA=1 */
/* dataAtIterB=-1 numReadsIterB=2 skipReadsIterB=0 readsPerIterB=5 */


/* iter 2 (last unrolled loop) */

/*  grEndMfmaIndex:0, lwStartMfmaIndex:147, lwEndMfmaIndex:147  */
/*  numMfmaForLR:10, barrierMfmaIndex:149, LocalWritePerMfma:0.110 */
/*  mfmaIndex:40  */
/* localReadsVacancy: latencyLeft 5 */
s_waitcnt lgkmcnt(2)                               // lgkmcnt=0 vmcnt=-1wait for prior local read local write old=0, new=0 newLW=0 newLR=0
v_add_f32 v199, -v[vgprValuA_X2_I0+0+0+0+1], 0     // Ai=-Ai
v_mfma_f32_16x16x4_f32 v[0+0:3+0], v[vgprValuB_X2_I0+0+0+0], v[vgprValuA_X2_I0+0+0+0], v[0:3]
 // Cr += Ar*Br
/*  mfmaIndex:41  */
/* localReadsVacancy: latencyLeft 5 */
v_mfma_f32_16x16x4_f32 v[20+0:23+0], v[vgprValuB_X2_I0+0+0+0], v[vgprValuA_X2_I0+0+0+0+1], v[20:23]
 // Ci += Ai*Br
/*  mfmaIndex:42  */
/* localReadsVacancy: latencyLeft 5 */
v_mfma_f32_16x16x4_f32 v[0+0:3+0], v[vgprValuB_X2_I0+0+0+0+1], v199, v[0:3]
 // Cr += -Ai*Bi
/*  mfmaIndex:43  */
/* localReadsVacancy: latencyLeft 5 */
v_mfma_f32_16x16x4_f32 v[20+0:23+0], v[vgprValuB_X2_I0+0+0+0+1], v[vgprValuA_X2_I0+0+0+0], v[20:23]
 // Ci += Ar*Bi
/*  mfmaIndex:44  */
/* localReadsVacancy: latencyLeft 5 */
v_mfma_f32_16x16x4_f32 v[4+0:7+0], v[vgprValuB_X2_I0+4+0+0], v[vgprValuA_X2_I0+0+0+0], v[4:7]
 // Cr += Ar*Br
/*  mfmaIndex:45  */
/* localReadsVacancy: latencyLeft 5 */
v_mfma_f32_16x16x4_f32 v[24+0:27+0], v[vgprValuB_X2_I0+4+0+0], v[vgprValuA_X2_I0+0+0+0+1], v[24:27]
 // Ci += Ai*Br
/*  mfmaIndex:46  */
/* localReadsVacancy: latencyLeft 5 */
v_mfma_f32_16x16x4_f32 v[4+0:7+0], v[vgprValuB_X2_I0+4+0+0+1], v199, v[4:7]
 // Cr += -Ai*Bi
/*  mfmaIndex:47  */
/* localReadsVacancy: latencyLeft 5 */
v_mfma_f32_16x16x4_f32 v[24+0:27+0], v[vgprValuB_X2_I0+4+0+0+1], v[vgprValuA_X2_I0+0+0+0], v[24:27]
 // Ci += Ar*Bi
/*  mfmaIndex:48  */
/* localReadsVacancy: latencyLeft 5 */
	;; [unrolled: 16-line block ×4, first 2 shown]
v_mfma_f32_16x16x4_f32 v[16+0:19+0], v[vgprValuB_X2_I0+16+0+0], v[vgprValuA_X2_I0+0+0+0], v[16:19]
 // Cr += Ar*Br
/*  mfmaIndex:57  */
/* localReadsVacancy: latencyLeft 5 */
v_mfma_f32_16x16x4_f32 v[36+0:39+0], v[vgprValuB_X2_I0+16+0+0], v[vgprValuA_X2_I0+0+0+0+1], v[36:39]
 // Ci += Ai*Br
/*  mfmaIndex:58  */
/* localReadsVacancy: latencyLeft 5 */
v_mfma_f32_16x16x4_f32 v[16+0:19+0], v[vgprValuB_X2_I0+16+0+0+1], v199, v[16:19]
 // Cr += -Ai*Bi
/*  mfmaIndex:59  */
/* localReadsVacancy: latencyLeft 5 */
v_mfma_f32_16x16x4_f32 v[36+0:39+0], v[vgprValuB_X2_I0+16+0+0+1], v[vgprValuA_X2_I0+0+0+0], v[36:39]
 // Ci += Ar*Bi
/* numPrefetchIter=0 */
/* dataAtIterA=1 numReadsIterA=3 skipReadsIterA=1 readsPerIterA=1 */
/* dataAtIterB=0 numReadsIterB=3 skipReadsIterB=0 readsPerIterB=5 */


/* iter 3 (last unrolled loop) */

/*  grEndMfmaIndex:0, lwStartMfmaIndex:147, lwEndMfmaIndex:147  */
/*  numMfmaForLR:10, barrierMfmaIndex:149, LocalWritePerMfma:0.110 */
/*  mfmaIndex:60  */
/* localReadsVacancy: latencyLeft 5 */
s_waitcnt lgkmcnt(2)                               // lgkmcnt=0 vmcnt=-1wait for prior local read local write old=0, new=0 newLW=0 newLR=0
v_add_f32 v199, -v[vgprValuA_X3_I0+0+0+0+1], 0     // Ai=-Ai
v_mfma_f32_16x16x4_f32 v[0+0:3+0], v[vgprValuB_X2_I0+0+2+0], v[vgprValuA_X3_I0+0+0+0], v[0:3]
 // Cr += Ar*Br
/*  mfmaIndex:61  */
/* localReadsVacancy: latencyLeft 5 */
v_mfma_f32_16x16x4_f32 v[20+0:23+0], v[vgprValuB_X2_I0+0+2+0], v[vgprValuA_X3_I0+0+0+0+1], v[20:23]
 // Ci += Ai*Br
/*  mfmaIndex:62  */
/* localReadsVacancy: latencyLeft 5 */
v_mfma_f32_16x16x4_f32 v[0+0:3+0], v[vgprValuB_X2_I0+0+2+0+1], v199, v[0:3]
 // Cr += -Ai*Bi
/*  mfmaIndex:63  */
/* localReadsVacancy: latencyLeft 5 */
v_mfma_f32_16x16x4_f32 v[20+0:23+0], v[vgprValuB_X2_I0+0+2+0+1], v[vgprValuA_X3_I0+0+0+0], v[20:23]
 // Ci += Ar*Bi
/*  mfmaIndex:64  */
/* localReadsVacancy: latencyLeft 5 */
v_mfma_f32_16x16x4_f32 v[4+0:7+0], v[vgprValuB_X2_I0+4+2+0], v[vgprValuA_X3_I0+0+0+0], v[4:7]
 // Cr += Ar*Br
/*  mfmaIndex:65  */
/* localReadsVacancy: latencyLeft 5 */
v_mfma_f32_16x16x4_f32 v[24+0:27+0], v[vgprValuB_X2_I0+4+2+0], v[vgprValuA_X3_I0+0+0+0+1], v[24:27]
 // Ci += Ai*Br
/*  mfmaIndex:66  */
/* localReadsVacancy: latencyLeft 5 */
v_mfma_f32_16x16x4_f32 v[4+0:7+0], v[vgprValuB_X2_I0+4+2+0+1], v199, v[4:7]
 // Cr += -Ai*Bi
/*  mfmaIndex:67  */
/* localReadsVacancy: latencyLeft 5 */
v_mfma_f32_16x16x4_f32 v[24+0:27+0], v[vgprValuB_X2_I0+4+2+0+1], v[vgprValuA_X3_I0+0+0+0], v[24:27]
 // Ci += Ar*Bi
/*  mfmaIndex:68  */
/* localReadsVacancy: latencyLeft 5 */
	;; [unrolled: 16-line block ×4, first 2 shown]
v_mfma_f32_16x16x4_f32 v[16+0:19+0], v[vgprValuB_X2_I0+16+2+0], v[vgprValuA_X3_I0+0+0+0], v[16:19]
 // Cr += Ar*Br
/*  mfmaIndex:77  */
/* localReadsVacancy: latencyLeft 5 */
v_mfma_f32_16x16x4_f32 v[36+0:39+0], v[vgprValuB_X2_I0+16+2+0], v[vgprValuA_X3_I0+0+0+0+1], v[36:39]
 // Ci += Ai*Br
/*  mfmaIndex:78  */
/* localReadsVacancy: latencyLeft 5 */
v_mfma_f32_16x16x4_f32 v[16+0:19+0], v[vgprValuB_X2_I0+16+2+0+1], v199, v[16:19]
 // Cr += -Ai*Bi
/*  mfmaIndex:79  */
/* localReadsVacancy: latencyLeft 5 */
v_mfma_f32_16x16x4_f32 v[36+0:39+0], v[vgprValuB_X2_I0+16+2+0+1], v[vgprValuA_X3_I0+0+0+0], v[36:39]
 // Ci += Ar*Bi
/* numPrefetchIter=0 */
/* dataAtIterA=2 numReadsIterA=4 skipReadsIterA=1 readsPerIterA=1 */
/* dataAtIterB=0 numReadsIterB=3 skipReadsIterB=0 readsPerIterB=5 */


/* iter 4 (last unrolled loop) */

/*  grEndMfmaIndex:0, lwStartMfmaIndex:147, lwEndMfmaIndex:147  */
/*  numMfmaForLR:10, barrierMfmaIndex:149, LocalWritePerMfma:0.110 */
/*  mfmaIndex:80  */
/* localReadsVacancy: latencyLeft 5 */
s_waitcnt lgkmcnt(2)                               // lgkmcnt=0 vmcnt=-1wait for prior local read local write old=0, new=0 newLW=0 newLR=0
v_add_f32 v199, -v[vgprValuA_X4_I0+0+0+0+1], 0     // Ai=-Ai
v_mfma_f32_16x16x4_f32 v[0+0:3+0], v[vgprValuB_X4_I0+0+0+0], v[vgprValuA_X4_I0+0+0+0], v[0:3]
 // Cr += Ar*Br
/*  mfmaIndex:81  */
/* localReadsVacancy: latencyLeft 5 */
v_mfma_f32_16x16x4_f32 v[20+0:23+0], v[vgprValuB_X4_I0+0+0+0], v[vgprValuA_X4_I0+0+0+0+1], v[20:23]
 // Ci += Ai*Br
/*  mfmaIndex:82  */
/* localReadsVacancy: latencyLeft 5 */
v_mfma_f32_16x16x4_f32 v[0+0:3+0], v[vgprValuB_X4_I0+0+0+0+1], v199, v[0:3]
 // Cr += -Ai*Bi
/*  mfmaIndex:83  */
/* localReadsVacancy: latencyLeft 5 */
v_mfma_f32_16x16x4_f32 v[20+0:23+0], v[vgprValuB_X4_I0+0+0+0+1], v[vgprValuA_X4_I0+0+0+0], v[20:23]
 // Ci += Ar*Bi
/*  mfmaIndex:84  */
/* localReadsVacancy: latencyLeft 5 */
v_mfma_f32_16x16x4_f32 v[4+0:7+0], v[vgprValuB_X4_I0+4+0+0], v[vgprValuA_X4_I0+0+0+0], v[4:7]
 // Cr += Ar*Br
/*  mfmaIndex:85  */
/* localReadsVacancy: latencyLeft 5 */
v_mfma_f32_16x16x4_f32 v[24+0:27+0], v[vgprValuB_X4_I0+4+0+0], v[vgprValuA_X4_I0+0+0+0+1], v[24:27]
 // Ci += Ai*Br
/*  mfmaIndex:86  */
/* localReadsVacancy: latencyLeft 5 */
v_mfma_f32_16x16x4_f32 v[4+0:7+0], v[vgprValuB_X4_I0+4+0+0+1], v199, v[4:7]
 // Cr += -Ai*Bi
/*  mfmaIndex:87  */
/* localReadsVacancy: latencyLeft 5 */
v_mfma_f32_16x16x4_f32 v[24+0:27+0], v[vgprValuB_X4_I0+4+0+0+1], v[vgprValuA_X4_I0+0+0+0], v[24:27]
 // Ci += Ar*Bi
/*  mfmaIndex:88  */
/* localReadsVacancy: latencyLeft 5 */
	;; [unrolled: 16-line block ×4, first 2 shown]
v_mfma_f32_16x16x4_f32 v[16+0:19+0], v[vgprValuB_X4_I0+16+0+0], v[vgprValuA_X4_I0+0+0+0], v[16:19]
 // Cr += Ar*Br
/*  mfmaIndex:97  */
/* localReadsVacancy: latencyLeft 5 */
v_mfma_f32_16x16x4_f32 v[36+0:39+0], v[vgprValuB_X4_I0+16+0+0], v[vgprValuA_X4_I0+0+0+0+1], v[36:39]
 // Ci += Ai*Br
/*  mfmaIndex:98  */
/* localReadsVacancy: latencyLeft 5 */
v_mfma_f32_16x16x4_f32 v[16+0:19+0], v[vgprValuB_X4_I0+16+0+0+1], v199, v[16:19]
 // Cr += -Ai*Bi
/*  mfmaIndex:99  */
/* localReadsVacancy: latencyLeft 5 */
v_mfma_f32_16x16x4_f32 v[36+0:39+0], v[vgprValuB_X4_I0+16+0+0+1], v[vgprValuA_X4_I0+0+0+0], v[36:39]
 // Ci += Ar*Bi
/* numPrefetchIter=0 */
/* dataAtIterA=3 numReadsIterA=5 skipReadsIterA=1 readsPerIterA=1 */
/* dataAtIterB=1 numReadsIterB=3 skipReadsIterB=0 readsPerIterB=5 */


/* iter 5 (last unrolled loop) */

/*  grEndMfmaIndex:0, lwStartMfmaIndex:147, lwEndMfmaIndex:147  */
/*  numMfmaForLR:10, barrierMfmaIndex:149, LocalWritePerMfma:0.110 */
/*  mfmaIndex:100  */
/* localReadsVacancy: latencyLeft 5 */
s_waitcnt lgkmcnt(2)                               // lgkmcnt=0 vmcnt=-1wait for prior local read local write old=1, new=1 newLW=0 newLR=0
v_add_f32 v199, -v[vgprValuA_X5_I0+0+0+0+1], 0     // Ai=-Ai
v_mfma_f32_16x16x4_f32 v[0+0:3+0], v[vgprValuB_X4_I0+0+2+0], v[vgprValuA_X5_I0+0+0+0], v[0:3]
 // Cr += Ar*Br
/*  mfmaIndex:101  */
/* localReadsVacancy: latencyLeft 5 */
v_mfma_f32_16x16x4_f32 v[20+0:23+0], v[vgprValuB_X4_I0+0+2+0], v[vgprValuA_X5_I0+0+0+0+1], v[20:23]
 // Ci += Ai*Br
/*  mfmaIndex:102  */
/* localReadsVacancy: latencyLeft 5 */
v_mfma_f32_16x16x4_f32 v[0+0:3+0], v[vgprValuB_X4_I0+0+2+0+1], v199, v[0:3]
 // Cr += -Ai*Bi
/*  mfmaIndex:103  */
/* localReadsVacancy: latencyLeft 5 */
v_mfma_f32_16x16x4_f32 v[20+0:23+0], v[vgprValuB_X4_I0+0+2+0+1], v[vgprValuA_X5_I0+0+0+0], v[20:23]
 // Ci += Ar*Bi
/*  mfmaIndex:104  */
/* localReadsVacancy: latencyLeft 5 */
v_mfma_f32_16x16x4_f32 v[4+0:7+0], v[vgprValuB_X4_I0+4+2+0], v[vgprValuA_X5_I0+0+0+0], v[4:7]
 // Cr += Ar*Br
/*  mfmaIndex:105  */
/* localReadsVacancy: latencyLeft 5 */
v_mfma_f32_16x16x4_f32 v[24+0:27+0], v[vgprValuB_X4_I0+4+2+0], v[vgprValuA_X5_I0+0+0+0+1], v[24:27]
 // Ci += Ai*Br
/*  mfmaIndex:106  */
/* localReadsVacancy: latencyLeft 5 */
v_mfma_f32_16x16x4_f32 v[4+0:7+0], v[vgprValuB_X4_I0+4+2+0+1], v199, v[4:7]
 // Cr += -Ai*Bi
/*  mfmaIndex:107  */
/* localReadsVacancy: latencyLeft 5 */
v_mfma_f32_16x16x4_f32 v[24+0:27+0], v[vgprValuB_X4_I0+4+2+0+1], v[vgprValuA_X5_I0+0+0+0], v[24:27]
 // Ci += Ar*Bi
/*  mfmaIndex:108  */
/* localReadsVacancy: latencyLeft 5 */
	;; [unrolled: 16-line block ×4, first 2 shown]
v_mfma_f32_16x16x4_f32 v[16+0:19+0], v[vgprValuB_X4_I0+16+2+0], v[vgprValuA_X5_I0+0+0+0], v[16:19]
 // Cr += Ar*Br
/*  mfmaIndex:117  */
/* localReadsVacancy: latencyLeft 5 */
v_mfma_f32_16x16x4_f32 v[36+0:39+0], v[vgprValuB_X4_I0+16+2+0], v[vgprValuA_X5_I0+0+0+0+1], v[36:39]
 // Ci += Ai*Br
/*  mfmaIndex:118  */
/* localReadsVacancy: latencyLeft 5 */
v_mfma_f32_16x16x4_f32 v[16+0:19+0], v[vgprValuB_X4_I0+16+2+0+1], v199, v[16:19]
 // Cr += -Ai*Bi
/*  mfmaIndex:119  */
/* localReadsVacancy: latencyLeft 5 */
v_mfma_f32_16x16x4_f32 v[36+0:39+0], v[vgprValuB_X4_I0+16+2+0+1], v[vgprValuA_X5_I0+0+0+0], v[36:39]
 // Ci += Ar*Bi
/* numPrefetchIter=0 */
/* dataAtIterA=4 numReadsIterA=6 skipReadsIterA=1 readsPerIterA=1 */
/* dataAtIterB=1 numReadsIterB=3 skipReadsIterB=0 readsPerIterB=5 */


/* iter 6 (last unrolled loop) */

/*  grEndMfmaIndex:0, lwStartMfmaIndex:147, lwEndMfmaIndex:147  */
/*  numMfmaForLR:10, barrierMfmaIndex:149, LocalWritePerMfma:0.110 */
/*  mfmaIndex:120  */
/* localReadsVacancy: latencyLeft 5 */
s_waitcnt lgkmcnt(1)                               // lgkmcnt=0 vmcnt=-1wait for prior local read local write old=1, new=1 newLW=0 newLR=0
v_add_f32 v199, -v[vgprValuA_X6_I0+0+0+0+1], 0     // Ai=-Ai
v_mfma_f32_16x16x4_f32 v[0+0:3+0], v[vgprValuB_X6_I0+0+0+0], v[vgprValuA_X6_I0+0+0+0], v[0:3]
 // Cr += Ar*Br
/*  mfmaIndex:121  */
/* localReadsVacancy: latencyLeft 5 */
v_mfma_f32_16x16x4_f32 v[20+0:23+0], v[vgprValuB_X6_I0+0+0+0], v[vgprValuA_X6_I0+0+0+0+1], v[20:23]
 // Ci += Ai*Br
/*  mfmaIndex:122  */
/* localReadsVacancy: latencyLeft 5 */
v_mfma_f32_16x16x4_f32 v[0+0:3+0], v[vgprValuB_X6_I0+0+0+0+1], v199, v[0:3]
 // Cr += -Ai*Bi
/*  mfmaIndex:123  */
/* localReadsVacancy: latencyLeft 5 */
v_mfma_f32_16x16x4_f32 v[20+0:23+0], v[vgprValuB_X6_I0+0+0+0+1], v[vgprValuA_X6_I0+0+0+0], v[20:23]
 // Ci += Ar*Bi
/*  mfmaIndex:124  */
/* localReadsVacancy: latencyLeft 5 */
v_mfma_f32_16x16x4_f32 v[4+0:7+0], v[vgprValuB_X6_I0+4+0+0], v[vgprValuA_X6_I0+0+0+0], v[4:7]
 // Cr += Ar*Br
/*  mfmaIndex:125  */
/* localReadsVacancy: latencyLeft 5 */
v_mfma_f32_16x16x4_f32 v[24+0:27+0], v[vgprValuB_X6_I0+4+0+0], v[vgprValuA_X6_I0+0+0+0+1], v[24:27]
 // Ci += Ai*Br
/*  mfmaIndex:126  */
/* localReadsVacancy: latencyLeft 5 */
v_mfma_f32_16x16x4_f32 v[4+0:7+0], v[vgprValuB_X6_I0+4+0+0+1], v199, v[4:7]
 // Cr += -Ai*Bi
/*  mfmaIndex:127  */
/* localReadsVacancy: latencyLeft 5 */
v_mfma_f32_16x16x4_f32 v[24+0:27+0], v[vgprValuB_X6_I0+4+0+0+1], v[vgprValuA_X6_I0+0+0+0], v[24:27]
 // Ci += Ar*Bi
/*  mfmaIndex:128  */
/* localReadsVacancy: latencyLeft 5 */
	;; [unrolled: 16-line block ×4, first 2 shown]
v_mfma_f32_16x16x4_f32 v[16+0:19+0], v[vgprValuB_X6_I0+16+0+0], v[vgprValuA_X6_I0+0+0+0], v[16:19]
 // Cr += Ar*Br
/*  mfmaIndex:137  */
/* localReadsVacancy: latencyLeft 5 */
v_mfma_f32_16x16x4_f32 v[36+0:39+0], v[vgprValuB_X6_I0+16+0+0], v[vgprValuA_X6_I0+0+0+0+1], v[36:39]
 // Ci += Ai*Br
/*  mfmaIndex:138  */
/* localReadsVacancy: latencyLeft 5 */
v_mfma_f32_16x16x4_f32 v[16+0:19+0], v[vgprValuB_X6_I0+16+0+0+1], v199, v[16:19]
 // Cr += -Ai*Bi
/*  mfmaIndex:139  */
/* localReadsVacancy: latencyLeft 5 */
v_mfma_f32_16x16x4_f32 v[36+0:39+0], v[vgprValuB_X6_I0+16+0+0+1], v[vgprValuA_X6_I0+0+0+0], v[36:39]
 // Ci += Ar*Bi
/* numPrefetchIter=0 */
/* dataAtIterA=5 numReadsIterA=7 skipReadsIterA=1 readsPerIterA=1 */
/* dataAtIterB=2 numReadsIterB=3 skipReadsIterB=0 readsPerIterB=5 */


/* iter 7 (last unrolled loop) */

/*  grEndMfmaIndex:0, lwStartMfmaIndex:147, lwEndMfmaIndex:147  */
/*  numMfmaForLR:10, barrierMfmaIndex:149, LocalWritePerMfma:0.110 */
/*  mfmaIndex:140  */
s_waitcnt lgkmcnt(0)                               // lgkmcnt=0 vmcnt=-1wait for prior local read local write old=0, new=0 newLW=0 newLR=0
v_add_f32 v199, -v[vgprValuA_X7_I0+0+0+0+1], 0     // Ai=-Ai
v_mfma_f32_16x16x4_f32 v[0+0:3+0], v[vgprValuB_X6_I0+0+2+0], v[vgprValuA_X7_I0+0+0+0], v[0:3]
 // Cr += Ar*Br
/*  mfmaIndex:141  */
v_mfma_f32_16x16x4_f32 v[20+0:23+0], v[vgprValuB_X6_I0+0+2+0], v[vgprValuA_X7_I0+0+0+0+1], v[20:23]
 // Ci += Ai*Br
/*  mfmaIndex:142  */
v_mfma_f32_16x16x4_f32 v[0+0:3+0], v[vgprValuB_X6_I0+0+2+0+1], v199, v[0:3]
 // Cr += -Ai*Bi
/*  mfmaIndex:143  */
v_mfma_f32_16x16x4_f32 v[20+0:23+0], v[vgprValuB_X6_I0+0+2+0+1], v[vgprValuA_X7_I0+0+0+0], v[20:23]
 // Ci += Ar*Bi
/*  mfmaIndex:144  */
v_mfma_f32_16x16x4_f32 v[4+0:7+0], v[vgprValuB_X6_I0+4+2+0], v[vgprValuA_X7_I0+0+0+0], v[4:7]
 // Cr += Ar*Br
/*  mfmaIndex:145  */
v_mfma_f32_16x16x4_f32 v[24+0:27+0], v[vgprValuB_X6_I0+4+2+0], v[vgprValuA_X7_I0+0+0+0+1], v[24:27]
 // Ci += Ai*Br
/*  mfmaIndex:146  */
/* 1 LDS buffer: read-sync-write */
s_waitcnt lgkmcnt(0)                               // 
s_barrier                                          // 
v_mfma_f32_16x16x4_f32 v[4+0:7+0], v[vgprValuB_X6_I0+4+2+0+1], v199, v[4:7]
 // Cr += -Ai*Bi
/*  mfmaIndex:147  */
v_mfma_f32_16x16x4_f32 v[24+0:27+0], v[vgprValuB_X6_I0+4+2+0+1], v[vgprValuA_X7_I0+0+0+0], v[24:27]
 // Ci += Ar*Bi
/*  mfmaIndex:148  */
v_mfma_f32_16x16x4_f32 v[8+0:11+0], v[vgprValuB_X6_I0+8+2+0], v[vgprValuA_X7_I0+0+0+0], v[8:11]
 // Cr += Ar*Br
/*  mfmaIndex:149  */
v_mfma_f32_16x16x4_f32 v[28+0:31+0], v[vgprValuB_X6_I0+8+2+0], v[vgprValuA_X7_I0+0+0+0+1], v[28:31]
 // Ci += Ai*Br
/*  mfmaIndex:150  */
v_mfma_f32_16x16x4_f32 v[8+0:11+0], v[vgprValuB_X6_I0+8+2+0+1], v199, v[8:11]
 // Cr += -Ai*Bi
/*  mfmaIndex:151  */
v_mfma_f32_16x16x4_f32 v[28+0:31+0], v[vgprValuB_X6_I0+8+2+0+1], v[vgprValuA_X7_I0+0+0+0], v[28:31]
 // Ci += Ar*Bi
/*  mfmaIndex:152  */
v_mfma_f32_16x16x4_f32 v[12+0:15+0], v[vgprValuB_X6_I0+12+2+0], v[vgprValuA_X7_I0+0+0+0], v[12:15]
 // Cr += Ar*Br
/*  mfmaIndex:153  */
v_mfma_f32_16x16x4_f32 v[32+0:35+0], v[vgprValuB_X6_I0+12+2+0], v[vgprValuA_X7_I0+0+0+0+1], v[32:35]
 // Ci += Ai*Br
/*  mfmaIndex:154  */
	;; [unrolled: 12-line block ×3, first 2 shown]
v_mfma_f32_16x16x4_f32 v[16+0:19+0], v[vgprValuB_X6_I0+16+2+0+1], v199, v[16:19]
 // Cr += -Ai*Bi
/*  mfmaIndex:159  */
v_mfma_f32_16x16x4_f32 v[36+0:39+0], v[vgprValuB_X6_I0+16+2+0+1], v[vgprValuA_X7_I0+0+0+0], v[36:39]
 // Ci += Ar*Bi
/* numPrefetchIter=0 */
/* dataAtIterA=6 numReadsIterA=7 skipReadsIterA=0 readsPerIterA=1 */
/* dataAtIterB=2 numReadsIterB=3 skipReadsIterB=0 readsPerIterB=5 */

PrefetchGlobalLastIterEnd_5:


/******************************************/
/* Tail Loop                              */
/******************************************/


/* local write reset offsets a */




/* local write reset offsets b */


	;; [unrolled: 1-line block ×4, first 2 shown]
//numIterL = (((sizeL % LOCAL_DEPTHU) + LOCAL_SPLITU - 1) / LOCAL_SPLITU)
s_and_b32 s[sgprLoopCounterL], 63, s[sgprSizesSum+0] // s[sgprLoopCounterL] = s[sgprSizesSum+0] % 64
s_cmp_eq_u32 s[sgprLoopCounterL], 0x0              // numIterL == 0
s_cbranch_scc1 SkipTailLoopL_8                     // skip to end of tail loop b/c numIter==0
s_mov_b32 s[sgprOrigLoopCounter], 0                // repurpose to count each localRead increment


/* Update M0 for DTLDS */


	;; [unrolled: 1-line block ×3, first 2 shown]
/* global read a */

/* g2l=0, load component 0 */
_buffer_load_b64 v[vgprG2LA+0+0:vgprG2LA+0+0+1], v[vgprGlobalReadOffsetA+0], s[sgprSrdA:sgprSrdA+3], 0, offen offset:0 // load one buffer value
/* g2l=0, load component 1 */
_buffer_load_b64 v[vgprG2LA+0+2:vgprG2LA+0+2+1], v[vgprGlobalReadOffsetA+0], s[sgprSrdA:sgprSrdA+3], 0, offen offset:8 // load one buffer value
/* g2l=4, load component 0 */
_buffer_load_b64 v[vgprG2LA+4+0:vgprG2LA+4+0+1], v[vgprGlobalReadOffsetA+0], s[sgprSrdA:sgprSrdA+3], s[sgprScalarGlobalReadOffsetA+0], offen offset:0 // load one buffer value
/* g2l=4, load component 1 */
_buffer_load_b64 v[vgprG2LA+4+2:vgprG2LA+4+2+1], v[vgprGlobalReadOffsetA+0], s[sgprSrdA:sgprSrdA+3], s[sgprScalarGlobalReadOffsetA+0], offen offset:8 // load one buffer value
	;; [unrolled: 2-line block ×6, first 2 shown]


/* Update M0 for DTLDS */


	;; [unrolled: 1-line block ×3, first 2 shown]
/* global read b */

/* g2l=0, load component 0 */
_buffer_load_b64 v[vgprG2LB+0+0:vgprG2LB+0+0+1], v[vgprGlobalReadOffsetB+0], s[sgprSrdB:sgprSrdB+3], 0, offen offset:0 // load one buffer value
/* g2l=0, load component 1 */
_buffer_load_b64 v[vgprG2LB+0+2:vgprG2LB+0+2+1], v[vgprGlobalReadOffsetB+0], s[sgprSrdB:sgprSrdB+3], 0, offen offset:8 // load one buffer value
/* g2l=4, load component 0 */
_buffer_load_b64 v[vgprG2LB+4+0:vgprG2LB+4+0+1], v[vgprGlobalReadOffsetB+0], s[sgprSrdB:sgprSrdB+3], s[sgprScalarGlobalReadOffsetB+0], offen offset:0 // load one buffer value
/* g2l=4, load component 1 */
_buffer_load_b64 v[vgprG2LB+4+2:vgprG2LB+4+2+1], v[vgprGlobalReadOffsetB+0], s[sgprSrdB:sgprSrdB+3], s[sgprScalarGlobalReadOffsetB+0], offen offset:8 // load one buffer value
	;; [unrolled: 2-line block ×18, first 2 shown]

s_waitcnt vmcnt(0)                                 // lgkmcnt=-1 vmcnt=02wait for global read

// Skip force waitcnt0
s_barrier //


/* Done global A/B reads */


	;; [unrolled: 1-line block ×4, first 2 shown]
/* local write a */

_ds_store_b128 v[vgprLocalWriteAddrA], v[vgprG2LA+0:vgprG2LA+0+3] offset:0 // lwoA_0_0_0_0 = (0*LSCA) + (0*LSPA)(*MT0I+PAD) = 0
_ds_store_b128 v[vgprLocalWriteAddrA], v[vgprG2LA+4:vgprG2LA+4+3] offset:4096 // lwoA_0_0_1_0 = (0*LSCA) + (1*LSPA)(*MT0I+PAD) = 4096
_ds_store_b128 v[vgprLocalWriteAddrA], v[vgprG2LA+8:vgprG2LA+8+3] offset:8192 // lwoA_0_0_2_0 = (0*LSCA) + (2*LSPA)(*MT0I+PAD) = 8192
_ds_store_b128 v[vgprLocalWriteAddrA], v[vgprG2LA+12:vgprG2LA+12+3] offset:12288 // lwoA_0_0_3_0 = (0*LSCA) + (3*LSPA)(*MT0I+PAD) = 12288


/* local write b */

_ds_store_b128 v[vgprLocalWriteAddrB], v[vgprG2LB+0:vgprG2LB+0+3] offset:0 // lwoB_0_0_0_0 = (0*LSCB)*(MT1J+PAD) + (0*LSPB) = 0
_ds_store_b128 v[vgprLocalWriteAddrB], v[vgprG2LB+4:vgprG2LB+4+3] offset:4352 // lwoB_0_0_1_0 = (0*LSCB)*(MT1J+PAD) + (1*LSPB) = 4352
_ds_store_b128 v[vgprLocalWriteAddrB], v[vgprG2LB+8:vgprG2LB+8+3] offset:8704 // lwoB_0_0_2_0 = (0*LSCB)*(MT1J+PAD) + (2*LSPB) = 8704
_ds_store_b128 v[vgprLocalWriteAddrB], v[vgprG2LB+12:vgprG2LB+12+3] offset:13056 // lwoB_0_0_3_0 = (0*LSCB)*(MT1J+PAD) + (3*LSPB) = 13056
_ds_store_b128 v[vgprLocalWriteAddrB], v[vgprG2LB+16:vgprG2LB+16+3] offset:17408 // lwoB_0_0_4_0 = (0*LSCB)*(MT1J+PAD) + (4*LSPB) = 17408
_ds_store_b128 v[vgprLocalWriteAddrB], v[vgprG2LB+20:vgprG2LB+20+3] offset:21760 // lwoB_0_0_5_0 = (0*LSCB)*(MT1J+PAD) + (5*LSPB) = 21760
_ds_store_b128 v[vgprLocalWriteAddrB], v[vgprG2LB+24:vgprG2LB+24+3] offset:26112 // lwoB_0_0_6_0 = (0*LSCB)*(MT1J+PAD) + (6*LSPB) = 26112
_ds_store_b128 v[vgprLocalWriteAddrB], v[vgprG2LB+28:vgprG2LB+28+3] offset:30464 // lwoB_0_0_7_0 = (0*LSCB)*(MT1J+PAD) + (7*LSPB) = 30464
_ds_store_b128 v[vgprLocalWriteAddrB], v[vgprG2LB+32:vgprG2LB+32+3] offset:34816 // lwoB_0_0_8_0 = (0*LSCB)*(MT1J+PAD) + (8*LSPB) = 34816
_ds_store_b128 v[vgprLocalWriteAddrB], v[vgprG2LB+36:vgprG2LB+36+3] offset:39168 // lwoB_0_0_9_0 = (0*LSCB)*(MT1J+PAD) + (9*LSPB) = 39168


/* Recalc local read offsets */

/*lr0I*/
v_and_b32 v200, 63, v[vgprSerial]                  // 0. thread id in wave: wtid = tid % wavelength(64)
v_and_b32 v199, 15, v200                           // 1. N offset: nIdx = wtid % MI_N(16)
                                                   // 1. N offset: nOffset = nIdx * nStride(1) (multiplier is 1, do nothing)
                                                   // 2. block offset: bnIdx = bnIdx % num1DBlocks(1) is 0. do nothing
                                                   // 4. apply VectorWidth: bnOffset = bnOffset * vw(1) (multiplier is 1, do nothing)
v_lshrrev_b32 v200, 4, v200                        // 5. K offset: kIdx = wtid / (MIN(16) * MIBB(1))
v_lshlrev_b32 v200, 0x5, v200                      // 5. K offset: lrKOffset = kIdx * mStride(32)
_v_add_u32 v199, v200, v199                        // 6. offset in wave: lrOffset = bnOffset + lrKOffset
v_lshrrev_b32 v201, 6, v[vgprSerial]               // 7. wave offset in N dimen: wtid = tid / dividedForWaveId(64)
v_and_b32 v200, 1, v201                            // 7. wave offset in M dimen: wtid0 = wtid / num1DWaves(2)
v_lshlrev_b32 v200, 0x4, v200                      // 7. wave offset in M dimen: wOffset = wtid0 * W0Stride(16)
_v_add_u32 v199, v200, v199                        // 8. final local read offset: flrOffset = lrOffset + WOffset
v_lshrrev_b32 v200, 7, v[vgprSerial]               // LSU offset: sgid = Serial / subGroup(128)
v_lshlrev_b32 v200, 0x7, v200                      // LSU offset: lsuOffset = sgid * kInterval(4) *  strideK(32)
_v_add_u32 v199, v200, v199                        // LSU offset: lrOffset += lsuOffset
/*lr1J*/
v_and_b32 v201, 63, v[vgprSerial]                  // 0. thread id in wave: wtid = tid % wavelength(64)
v_and_b32 v200, 15, v201                           // 1. N offset: nIdx = wtid % MI_N(16)
v_lshlrev_b32 v200, 0x6, v200                      // 1. N offset: nOffset = nIdx * nStride(64)
                                                   // 2. block offset: bnIdx = bnIdx % num1DBlocks(1) is 0. do nothing
                                                   // 4. apply VectorWidth: bnOffset = bnOffset * vw(1) (multiplier is 1, do nothing)
v_lshrrev_b32 v201, 4, v201                        // 5. K offset: kIdx = wtid / (MIN(16) * MIBB(1))
                                                   // 5. K offset: lrKOffset = kIdx * mStride(1) (multiplier is 1, do nothing)
_v_add_u32 v200, v201, v200                        // 6. offset in wave: lrOffset = bnOffset + lrKOffset
v_lshrrev_b32 v201, 7, v[vgprSerial]               // LSU offset: sgid = Serial / subGroup(128)
v_lshlrev_b32 v201, 0x2, v201                      // LSU offset: lsuOffset = sgid * kInterval(4) *  strideK(1)
_v_add_u32 v200, v201, v200                        // LSU offset: lrOffset += lsuOffset
v_lshlrev_b32 v[vgprLocalReadAddrA], 0x3, v199     // Final Offset: offset = (lro0)*bpe
/* N/A */
v_lshlrev_b32 v[vgprLocalReadAddrB], 0x3, v200     // Final Offset: offset = (lro1)*bpe
v_lshrrev_b32 v199, 9, v[vgprLocalReadAddrB]       // Final Offset: padding 4 per block 512
v_lshlrev_b32 v199, 0x5, v199                      // Final Offset: padding 4 per block 512
_v_add_u32 v[vgprLocalReadAddrB], v199, v[vgprLocalReadAddrB] // Final Offset: add padding 4 per block 512
_v_add_co_u32 v[vgprLocalReadAddrB+0], vcc, 0x4000, v[vgprLocalReadAddrB+0] //  += LdsOffsetB (lower)

s_waitcnt lgkmcnt(0)                               // lgkmcnt=0 vmcnt=-15wait for local write

// Skip force waitcnt0
s_barrier //


/* local read reset offsets a */


	;; [unrolled: 1-line block ×3, first 2 shown]
/* local read reset offsets b */


	;; [unrolled: 1-line block ×3, first 2 shown]
/* local read init pointers a */


/* localReadInitPointers */


/* local read init pointers b */


/* localReadInitPointers */


/* tail loop: macs */

TailLoopBeginL_6:


/* tail loop unroll iter 0 */


/* local read a */

_ds_load_b64 v[vgprValuA_X0_I0+0:vgprValuA_X0_I0+0+1], v[vgprLocalReadAddrA] offset:0 // L -> Reg lro=0 swapByteOffset=0 ti=32 vIdx=0 rIdx=0 oIdx=0 buffer=0 iui=0


/* local read b */

_ds_load_b64 v[vgprValuB_X0_I0+0:vgprValuB_X0_I0+0+1], v[vgprLocalReadAddrB] offset:0 // L -> Reg lro=0 swapByteOffset=0 ti=16 vIdx=0 rIdx=0 oIdx=0 buffer=0 iui=0
_ds_load_b64 v[vgprValuB_X0_I0+2:vgprValuB_X0_I0+2+1], v[vgprLocalReadAddrB] offset:8704 // L -> Reg lro=0 swapByteOffset=0 ti=16 vIdx=1 rIdx=0 oIdx=0 buffer=0 iui=0
	;; [unrolled: 1-line block ×5, first 2 shown]


/* local read inc a */

s_mov_b32 s34, 0x800                               // inc
_v_add_co_u32 v[vgprLocalReadAddrA], vcc, s34, v[vgprLocalReadAddrA] // lrA += 2048 (LSU*(MT+PAD)*bpe)


/* local read inc b */

s_mov_b32 s34, 0x40                                // inc
_v_add_co_u32 v[vgprLocalReadAddrB], vcc, s34, v[vgprLocalReadAddrB] // lrB += 64 (LSU*bpe)

s_waitcnt lgkmcnt(0)                               // lgkmcnt=0 vmcnt=-14wait for local read


	;; [unrolled: 1-line block ×3, first 2 shown]
/* tail loop mfma iter 0: numReadsIterCoalescedA=1, numReadsIterCoalescedB=1 */
v_and_b32 v199, 63, v[vgprSerial]                  // v199 = v[vgprSerial] % 64
v_lshrrev_b32 v199, 4, v199                        // v199 = v199 / 16
                                                   // v199 = v199 * 1 (multiplier is 1, do nothing)
v_lshrrev_b32 v200, 7, v[vgprSerial]               // v200 = v[vgprSerial] / 128
v_lshlrev_b32 v200, 0x2, v200                      // v200 = v200 * 4
_v_add_u32 v199, v200, v199                        // k += sgid * kInterval*numReadsIterCoalesced
v_cmp_ge_i32 s[66:67], v199, s[sgprLoopCounterL]   // check K index >= Size L
v_cndmask_b32 v[vgprValuB_X0_I0+0+0+0+0], v[vgprValuB_X0_I0+0+0+0+0], 0x0, s[66:67] // set 0 if K_idx >= sizeL
v_cndmask_b32 v[vgprValuB_X0_I0+2+0+0+0], v[vgprValuB_X0_I0+2+0+0+0], 0x0, s[66:67] // set 0 if K_idx >= sizeL
	;; [unrolled: 1-line block ×10, first 2 shown]
s_nop 1
v_add_f32 v199, -v[vgprValuA_X0_I0+0+0+0+1], 0     // Ai=-Ai
v_mfma_f32_16x16x4_f32 v[0+0:3+0], v[vgprValuB_X0_I0+0+0+0], v[vgprValuA_X0_I0+0+0+0], v[0:3]
 // Cr += Ar*Br
v_mfma_f32_16x16x4_f32 v[20+0:23+0], v[vgprValuB_X0_I0+0+0+0], v[vgprValuA_X0_I0+0+0+0+1], v[20:23]
 // Ci += Ai*Br
v_mfma_f32_16x16x4_f32 v[0+0:3+0], v[vgprValuB_X0_I0+0+0+0+1], v199, v[0:3]
 // Cr += -Ai*Bi
v_mfma_f32_16x16x4_f32 v[20+0:23+0], v[vgprValuB_X0_I0+0+0+0+1], v[vgprValuA_X0_I0+0+0+0], v[20:23]
 // Ci += Ar*Bi
v_mfma_f32_16x16x4_f32 v[4+0:7+0], v[vgprValuB_X0_I0+2+0+0], v[vgprValuA_X0_I0+0+0+0], v[4:7]
 // Cr += Ar*Br
v_mfma_f32_16x16x4_f32 v[24+0:27+0], v[vgprValuB_X0_I0+2+0+0], v[vgprValuA_X0_I0+0+0+0+1], v[24:27]
 // Ci += Ai*Br
v_mfma_f32_16x16x4_f32 v[4+0:7+0], v[vgprValuB_X0_I0+2+0+0+1], v199, v[4:7]
 // Cr += -Ai*Bi
v_mfma_f32_16x16x4_f32 v[24+0:27+0], v[vgprValuB_X0_I0+2+0+0+1], v[vgprValuA_X0_I0+0+0+0], v[24:27]
 // Ci += Ar*Bi
	;; [unrolled: 8-line block ×5, first 2 shown]


/* closeLoop loopL finalLoop=0 tailLoop=1 */
s_sub_i32 s[sgprLoopCounterL], s[sgprLoopCounterL], 0x8 // dec counterL (tailLoop)
s_add_u32 s[sgprOrigLoopCounter], s[sgprOrigLoopCounter], 0x8 // inc counterL
s_cmp_le_i32 s[sgprLoopCounterL], 0x0              // counterL<=0
s_cbranch_scc1 TailLoopEndL_7                      // exit LoopL


/* tail loop unroll iter 1 */


/* local read a */

_ds_load_b64 v[vgprValuA_X1_I0+0:vgprValuA_X1_I0+0+1], v[vgprLocalReadAddrA] offset:0 // L -> Reg lro=0 swapByteOffset=0 ti=32 vIdx=0 rIdx=0 oIdx=0 buffer=1 iui=0


/* local read b */

_ds_load_b64 v[vgprValuB_X1_I0+0:vgprValuB_X1_I0+0+1], v[vgprLocalReadAddrB] offset:0 // L -> Reg lro=0 swapByteOffset=0 ti=16 vIdx=0 rIdx=0 oIdx=0 buffer=1 iui=0
_ds_load_b64 v[vgprValuB_X1_I0+2:vgprValuB_X1_I0+2+1], v[vgprLocalReadAddrB] offset:8704 // L -> Reg lro=0 swapByteOffset=0 ti=16 vIdx=1 rIdx=0 oIdx=0 buffer=1 iui=0
	;; [unrolled: 1-line block ×5, first 2 shown]


/* local read inc a */

s_mov_b32 s34, 0x800                               // inc
_v_add_co_u32 v[vgprLocalReadAddrA], vcc, s34, v[vgprLocalReadAddrA] // lrA += 2048 (LSU*(MT+PAD)*bpe)


/* local read inc b */

s_mov_b32 s34, 0x40                                // inc
_v_add_co_u32 v[vgprLocalReadAddrB], vcc, s34, v[vgprLocalReadAddrB] // lrB += 64 (LSU*bpe)

s_waitcnt lgkmcnt(0)                               // lgkmcnt=0 vmcnt=-14wait for local read


	;; [unrolled: 1-line block ×3, first 2 shown]
/* tail loop mfma iter 1: numReadsIterCoalescedA=1, numReadsIterCoalescedB=1 */
v_and_b32 v199, 63, v[vgprSerial]                  // v199 = v[vgprSerial] % 64
v_lshrrev_b32 v199, 4, v199                        // v199 = v199 / 16
                                                   // v199 = v199 * 1 (multiplier is 1, do nothing)
v_lshrrev_b32 v200, 7, v[vgprSerial]               // v200 = v[vgprSerial] / 128
v_lshlrev_b32 v200, 0x2, v200                      // v200 = v200 * 4
_v_add_u32 v199, v200, v199                        // k += sgid * kInterval*numReadsIterCoalesced
v_cmp_ge_i32 s[66:67], v199, s[sgprLoopCounterL]   // check K index >= Size L
v_cndmask_b32 v[vgprValuB_X1_I0+0+0+0+0], v[vgprValuB_X1_I0+0+0+0+0], 0x0, s[66:67] // set 0 if K_idx >= sizeL
v_cndmask_b32 v[vgprValuB_X1_I0+2+0+0+0], v[vgprValuB_X1_I0+2+0+0+0], 0x0, s[66:67] // set 0 if K_idx >= sizeL
	;; [unrolled: 1-line block ×10, first 2 shown]
s_nop 1
v_add_f32 v199, -v[vgprValuA_X1_I0+0+0+0+1], 0     // Ai=-Ai
v_mfma_f32_16x16x4_f32 v[0+0:3+0], v[vgprValuB_X1_I0+0+0+0], v[vgprValuA_X1_I0+0+0+0], v[0:3]
 // Cr += Ar*Br
v_mfma_f32_16x16x4_f32 v[20+0:23+0], v[vgprValuB_X1_I0+0+0+0], v[vgprValuA_X1_I0+0+0+0+1], v[20:23]
 // Ci += Ai*Br
v_mfma_f32_16x16x4_f32 v[0+0:3+0], v[vgprValuB_X1_I0+0+0+0+1], v199, v[0:3]
 // Cr += -Ai*Bi
v_mfma_f32_16x16x4_f32 v[20+0:23+0], v[vgprValuB_X1_I0+0+0+0+1], v[vgprValuA_X1_I0+0+0+0], v[20:23]
 // Ci += Ar*Bi
v_mfma_f32_16x16x4_f32 v[4+0:7+0], v[vgprValuB_X1_I0+2+0+0], v[vgprValuA_X1_I0+0+0+0], v[4:7]
 // Cr += Ar*Br
v_mfma_f32_16x16x4_f32 v[24+0:27+0], v[vgprValuB_X1_I0+2+0+0], v[vgprValuA_X1_I0+0+0+0+1], v[24:27]
 // Ci += Ai*Br
v_mfma_f32_16x16x4_f32 v[4+0:7+0], v[vgprValuB_X1_I0+2+0+0+1], v199, v[4:7]
 // Cr += -Ai*Bi
v_mfma_f32_16x16x4_f32 v[24+0:27+0], v[vgprValuB_X1_I0+2+0+0+1], v[vgprValuA_X1_I0+0+0+0], v[24:27]
 // Ci += Ar*Bi
	;; [unrolled: 8-line block ×5, first 2 shown]


/* closeLoop loopL finalLoop=0 tailLoop=1 */
s_sub_i32 s[sgprLoopCounterL], s[sgprLoopCounterL], 0x8 // dec counterL (tailLoop)
s_add_u32 s[sgprOrigLoopCounter], s[sgprOrigLoopCounter], 0x8 // inc counterL
s_cmp_le_i32 s[sgprLoopCounterL], 0x0              // counterL<=0
s_cbranch_scc1 TailLoopEndL_7                      // exit LoopL


/* tail loop unroll iter 2 */


/* local read a */

_ds_load_b64 v[vgprValuA_X2_I0+0:vgprValuA_X2_I0+0+1], v[vgprLocalReadAddrA] offset:0 // L -> Reg lro=0 swapByteOffset=0 ti=32 vIdx=0 rIdx=0 oIdx=0 buffer=2 iui=0


/* local read b */

_ds_load_b64 v[vgprValuB_X2_I0+0:vgprValuB_X2_I0+0+1], v[vgprLocalReadAddrB] offset:0 // L -> Reg lro=0 swapByteOffset=0 ti=16 vIdx=0 rIdx=0 oIdx=0 buffer=2 iui=0
_ds_load_b64 v[vgprValuB_X2_I0+2:vgprValuB_X2_I0+2+1], v[vgprLocalReadAddrB] offset:8704 // L -> Reg lro=0 swapByteOffset=0 ti=16 vIdx=1 rIdx=0 oIdx=0 buffer=2 iui=0
	;; [unrolled: 1-line block ×5, first 2 shown]


/* local read inc a */

s_mov_b32 s34, 0x800                               // inc
_v_add_co_u32 v[vgprLocalReadAddrA], vcc, s34, v[vgprLocalReadAddrA] // lrA += 2048 (LSU*(MT+PAD)*bpe)


/* local read inc b */

s_mov_b32 s34, 0x40                                // inc
_v_add_co_u32 v[vgprLocalReadAddrB], vcc, s34, v[vgprLocalReadAddrB] // lrB += 64 (LSU*bpe)

s_waitcnt lgkmcnt(0)                               // lgkmcnt=0 vmcnt=-14wait for local read


	;; [unrolled: 1-line block ×3, first 2 shown]
/* tail loop mfma iter 2: numReadsIterCoalescedA=1, numReadsIterCoalescedB=1 */
v_and_b32 v199, 63, v[vgprSerial]                  // v199 = v[vgprSerial] % 64
v_lshrrev_b32 v199, 4, v199                        // v199 = v199 / 16
                                                   // v199 = v199 * 1 (multiplier is 1, do nothing)
v_lshrrev_b32 v200, 7, v[vgprSerial]               // v200 = v[vgprSerial] / 128
v_lshlrev_b32 v200, 0x2, v200                      // v200 = v200 * 4
_v_add_u32 v199, v200, v199                        // k += sgid * kInterval*numReadsIterCoalesced
v_cmp_ge_i32 s[66:67], v199, s[sgprLoopCounterL]   // check K index >= Size L
v_cndmask_b32 v[vgprValuB_X2_I0+0+0+0+0], v[vgprValuB_X2_I0+0+0+0+0], 0x0, s[66:67] // set 0 if K_idx >= sizeL
v_cndmask_b32 v[vgprValuB_X2_I0+2+0+0+0], v[vgprValuB_X2_I0+2+0+0+0], 0x0, s[66:67] // set 0 if K_idx >= sizeL
v_cndmask_b32 v[vgprValuB_X2_I0+4+0+0+0], v[vgprValuB_X2_I0+4+0+0+0], 0x0, s[66:67] // set 0 if K_idx >= sizeL
v_cndmask_b32 v[vgprValuB_X2_I0+6+0+0+0], v[vgprValuB_X2_I0+6+0+0+0], 0x0, s[66:67] // set 0 if K_idx >= sizeL
v_cndmask_b32 v[vgprValuB_X2_I0+8+0+0+0], v[vgprValuB_X2_I0+8+0+0+0], 0x0, s[66:67] // set 0 if K_idx >= sizeL
v_cndmask_b32 v[vgprValuB_X2_I0+0+0+0+1], v[vgprValuB_X2_I0+0+0+0+1], 0x0, s[66:67] // set 0 if K_idx >= sizeL
v_cndmask_b32 v[vgprValuB_X2_I0+2+0+0+1], v[vgprValuB_X2_I0+2+0+0+1], 0x0, s[66:67] // set 0 if K_idx >= sizeL
v_cndmask_b32 v[vgprValuB_X2_I0+4+0+0+1], v[vgprValuB_X2_I0+4+0+0+1], 0x0, s[66:67] // set 0 if K_idx >= sizeL
v_cndmask_b32 v[vgprValuB_X2_I0+6+0+0+1], v[vgprValuB_X2_I0+6+0+0+1], 0x0, s[66:67] // set 0 if K_idx >= sizeL
v_cndmask_b32 v[vgprValuB_X2_I0+8+0+0+1], v[vgprValuB_X2_I0+8+0+0+1], 0x0, s[66:67] // set 0 if K_idx >= sizeL
s_nop 1
v_add_f32 v199, -v[vgprValuA_X2_I0+0+0+0+1], 0     // Ai=-Ai
v_mfma_f32_16x16x4_f32 v[0+0:3+0], v[vgprValuB_X2_I0+0+0+0], v[vgprValuA_X2_I0+0+0+0], v[0:3]
 // Cr += Ar*Br
v_mfma_f32_16x16x4_f32 v[20+0:23+0], v[vgprValuB_X2_I0+0+0+0], v[vgprValuA_X2_I0+0+0+0+1], v[20:23]
 // Ci += Ai*Br
v_mfma_f32_16x16x4_f32 v[0+0:3+0], v[vgprValuB_X2_I0+0+0+0+1], v199, v[0:3]
 // Cr += -Ai*Bi
v_mfma_f32_16x16x4_f32 v[20+0:23+0], v[vgprValuB_X2_I0+0+0+0+1], v[vgprValuA_X2_I0+0+0+0], v[20:23]
 // Ci += Ar*Bi
v_mfma_f32_16x16x4_f32 v[4+0:7+0], v[vgprValuB_X2_I0+2+0+0], v[vgprValuA_X2_I0+0+0+0], v[4:7]
 // Cr += Ar*Br
v_mfma_f32_16x16x4_f32 v[24+0:27+0], v[vgprValuB_X2_I0+2+0+0], v[vgprValuA_X2_I0+0+0+0+1], v[24:27]
 // Ci += Ai*Br
v_mfma_f32_16x16x4_f32 v[4+0:7+0], v[vgprValuB_X2_I0+2+0+0+1], v199, v[4:7]
 // Cr += -Ai*Bi
v_mfma_f32_16x16x4_f32 v[24+0:27+0], v[vgprValuB_X2_I0+2+0+0+1], v[vgprValuA_X2_I0+0+0+0], v[24:27]
 // Ci += Ar*Bi
	;; [unrolled: 8-line block ×5, first 2 shown]


/* closeLoop loopL finalLoop=0 tailLoop=1 */
s_sub_i32 s[sgprLoopCounterL], s[sgprLoopCounterL], 0x8 // dec counterL (tailLoop)
s_add_u32 s[sgprOrigLoopCounter], s[sgprOrigLoopCounter], 0x8 // inc counterL
s_cmp_le_i32 s[sgprLoopCounterL], 0x0              // counterL<=0
s_cbranch_scc1 TailLoopEndL_7                      // exit LoopL


/* tail loop unroll iter 3 */


/* local read a */

_ds_load_b64 v[vgprValuA_X3_I0+0:vgprValuA_X3_I0+0+1], v[vgprLocalReadAddrA] offset:0 // L -> Reg lro=0 swapByteOffset=0 ti=32 vIdx=0 rIdx=0 oIdx=0 buffer=3 iui=0


/* local read b */

_ds_load_b64 v[vgprValuB_X3_I0+0:vgprValuB_X3_I0+0+1], v[vgprLocalReadAddrB] offset:0 // L -> Reg lro=0 swapByteOffset=0 ti=16 vIdx=0 rIdx=0 oIdx=0 buffer=3 iui=0
_ds_load_b64 v[vgprValuB_X3_I0+2:vgprValuB_X3_I0+2+1], v[vgprLocalReadAddrB] offset:8704 // L -> Reg lro=0 swapByteOffset=0 ti=16 vIdx=1 rIdx=0 oIdx=0 buffer=3 iui=0
	;; [unrolled: 1-line block ×5, first 2 shown]


/* local read inc a */

s_mov_b32 s34, 0x800                               // inc
_v_add_co_u32 v[vgprLocalReadAddrA], vcc, s34, v[vgprLocalReadAddrA] // lrA += 2048 (LSU*(MT+PAD)*bpe)


/* local read inc b */

s_mov_b32 s34, 0x40                                // inc
_v_add_co_u32 v[vgprLocalReadAddrB], vcc, s34, v[vgprLocalReadAddrB] // lrB += 64 (LSU*bpe)

s_waitcnt lgkmcnt(0)                               // lgkmcnt=0 vmcnt=-14wait for local read


	;; [unrolled: 1-line block ×3, first 2 shown]
/* tail loop mfma iter 3: numReadsIterCoalescedA=1, numReadsIterCoalescedB=1 */
v_and_b32 v199, 63, v[vgprSerial]                  // v199 = v[vgprSerial] % 64
v_lshrrev_b32 v199, 4, v199                        // v199 = v199 / 16
                                                   // v199 = v199 * 1 (multiplier is 1, do nothing)
v_lshrrev_b32 v200, 7, v[vgprSerial]               // v200 = v[vgprSerial] / 128
v_lshlrev_b32 v200, 0x2, v200                      // v200 = v200 * 4
_v_add_u32 v199, v200, v199                        // k += sgid * kInterval*numReadsIterCoalesced
v_cmp_ge_i32 s[66:67], v199, s[sgprLoopCounterL]   // check K index >= Size L
v_cndmask_b32 v[vgprValuB_X3_I0+0+0+0+0], v[vgprValuB_X3_I0+0+0+0+0], 0x0, s[66:67] // set 0 if K_idx >= sizeL
v_cndmask_b32 v[vgprValuB_X3_I0+2+0+0+0], v[vgprValuB_X3_I0+2+0+0+0], 0x0, s[66:67] // set 0 if K_idx >= sizeL
	;; [unrolled: 1-line block ×10, first 2 shown]
s_nop 1
v_add_f32 v199, -v[vgprValuA_X3_I0+0+0+0+1], 0     // Ai=-Ai
v_mfma_f32_16x16x4_f32 v[0+0:3+0], v[vgprValuB_X3_I0+0+0+0], v[vgprValuA_X3_I0+0+0+0], v[0:3]
 // Cr += Ar*Br
v_mfma_f32_16x16x4_f32 v[20+0:23+0], v[vgprValuB_X3_I0+0+0+0], v[vgprValuA_X3_I0+0+0+0+1], v[20:23]
 // Ci += Ai*Br
v_mfma_f32_16x16x4_f32 v[0+0:3+0], v[vgprValuB_X3_I0+0+0+0+1], v199, v[0:3]
 // Cr += -Ai*Bi
v_mfma_f32_16x16x4_f32 v[20+0:23+0], v[vgprValuB_X3_I0+0+0+0+1], v[vgprValuA_X3_I0+0+0+0], v[20:23]
 // Ci += Ar*Bi
v_mfma_f32_16x16x4_f32 v[4+0:7+0], v[vgprValuB_X3_I0+2+0+0], v[vgprValuA_X3_I0+0+0+0], v[4:7]
 // Cr += Ar*Br
v_mfma_f32_16x16x4_f32 v[24+0:27+0], v[vgprValuB_X3_I0+2+0+0], v[vgprValuA_X3_I0+0+0+0+1], v[24:27]
 // Ci += Ai*Br
v_mfma_f32_16x16x4_f32 v[4+0:7+0], v[vgprValuB_X3_I0+2+0+0+1], v199, v[4:7]
 // Cr += -Ai*Bi
v_mfma_f32_16x16x4_f32 v[24+0:27+0], v[vgprValuB_X3_I0+2+0+0+1], v[vgprValuA_X3_I0+0+0+0], v[24:27]
 // Ci += Ar*Bi
v_mfma_f32_16x16x4_f32 v[8+0:11+0], v[vgprValuB_X3_I0+4+0+0], v[vgprValuA_X3_I0+0+0+0], v[8:11]
 // Cr += Ar*Br
v_mfma_f32_16x16x4_f32 v[28+0:31+0], v[vgprValuB_X3_I0+4+0+0], v[vgprValuA_X3_I0+0+0+0+1], v[28:31]
 // Ci += Ai*Br
v_mfma_f32_16x16x4_f32 v[8+0:11+0], v[vgprValuB_X3_I0+4+0+0+1], v199, v[8:11]
 // Cr += -Ai*Bi
v_mfma_f32_16x16x4_f32 v[28+0:31+0], v[vgprValuB_X3_I0+4+0+0+1], v[vgprValuA_X3_I0+0+0+0], v[28:31]
 // Ci += Ar*Bi
v_mfma_f32_16x16x4_f32 v[12+0:15+0], v[vgprValuB_X3_I0+6+0+0], v[vgprValuA_X3_I0+0+0+0], v[12:15]
 // Cr += Ar*Br
v_mfma_f32_16x16x4_f32 v[32+0:35+0], v[vgprValuB_X3_I0+6+0+0], v[vgprValuA_X3_I0+0+0+0+1], v[32:35]
 // Ci += Ai*Br
v_mfma_f32_16x16x4_f32 v[12+0:15+0], v[vgprValuB_X3_I0+6+0+0+1], v199, v[12:15]
 // Cr += -Ai*Bi
v_mfma_f32_16x16x4_f32 v[32+0:35+0], v[vgprValuB_X3_I0+6+0+0+1], v[vgprValuA_X3_I0+0+0+0], v[32:35]
 // Ci += Ar*Bi
v_mfma_f32_16x16x4_f32 v[16+0:19+0], v[vgprValuB_X3_I0+8+0+0], v[vgprValuA_X3_I0+0+0+0], v[16:19]
 // Cr += Ar*Br
v_mfma_f32_16x16x4_f32 v[36+0:39+0], v[vgprValuB_X3_I0+8+0+0], v[vgprValuA_X3_I0+0+0+0+1], v[36:39]
 // Ci += Ai*Br
v_mfma_f32_16x16x4_f32 v[16+0:19+0], v[vgprValuB_X3_I0+8+0+0+1], v199, v[16:19]
 // Cr += -Ai*Bi
v_mfma_f32_16x16x4_f32 v[36+0:39+0], v[vgprValuB_X3_I0+8+0+0+1], v[vgprValuA_X3_I0+0+0+0], v[36:39]
 // Ci += Ar*Bi


/* closeLoop loopL finalLoop=0 tailLoop=1 */
s_sub_i32 s[sgprLoopCounterL], s[sgprLoopCounterL], 0x8 // dec counterL (tailLoop)
s_add_u32 s[sgprOrigLoopCounter], s[sgprOrigLoopCounter], 0x8 // inc counterL
s_cmp_le_i32 s[sgprLoopCounterL], 0x0              // counterL<=0
s_cbranch_scc1 TailLoopEndL_7                      // exit LoopL


/* tail loop unroll iter 4 */


/* local read a */

_ds_load_b64 v[vgprValuA_X4_I0+0:vgprValuA_X4_I0+0+1], v[vgprLocalReadAddrA] offset:0 // L -> Reg lro=0 swapByteOffset=0 ti=32 vIdx=0 rIdx=0 oIdx=0 buffer=4 iui=0


/* local read b */

_ds_load_b64 v[vgprValuB_X4_I0+0:vgprValuB_X4_I0+0+1], v[vgprLocalReadAddrB] offset:0 // L -> Reg lro=0 swapByteOffset=0 ti=16 vIdx=0 rIdx=0 oIdx=0 buffer=4 iui=0
_ds_load_b64 v[vgprValuB_X4_I0+2:vgprValuB_X4_I0+2+1], v[vgprLocalReadAddrB] offset:8704 // L -> Reg lro=0 swapByteOffset=0 ti=16 vIdx=1 rIdx=0 oIdx=0 buffer=4 iui=0
	;; [unrolled: 1-line block ×5, first 2 shown]


/* local read inc a */

s_mov_b32 s34, 0x800                               // inc
_v_add_co_u32 v[vgprLocalReadAddrA], vcc, s34, v[vgprLocalReadAddrA] // lrA += 2048 (LSU*(MT+PAD)*bpe)


/* local read inc b */

s_mov_b32 s34, 0x40                                // inc
_v_add_co_u32 v[vgprLocalReadAddrB], vcc, s34, v[vgprLocalReadAddrB] // lrB += 64 (LSU*bpe)

s_waitcnt lgkmcnt(0)                               // lgkmcnt=0 vmcnt=-14wait for local read


	;; [unrolled: 1-line block ×3, first 2 shown]
/* tail loop mfma iter 4: numReadsIterCoalescedA=1, numReadsIterCoalescedB=1 */
v_and_b32 v199, 63, v[vgprSerial]                  // v199 = v[vgprSerial] % 64
v_lshrrev_b32 v199, 4, v199                        // v199 = v199 / 16
                                                   // v199 = v199 * 1 (multiplier is 1, do nothing)
v_lshrrev_b32 v200, 7, v[vgprSerial]               // v200 = v[vgprSerial] / 128
v_lshlrev_b32 v200, 0x2, v200                      // v200 = v200 * 4
_v_add_u32 v199, v200, v199                        // k += sgid * kInterval*numReadsIterCoalesced
v_cmp_ge_i32 s[66:67], v199, s[sgprLoopCounterL]   // check K index >= Size L
v_cndmask_b32 v[vgprValuB_X4_I0+0+0+0+0], v[vgprValuB_X4_I0+0+0+0+0], 0x0, s[66:67] // set 0 if K_idx >= sizeL
v_cndmask_b32 v[vgprValuB_X4_I0+2+0+0+0], v[vgprValuB_X4_I0+2+0+0+0], 0x0, s[66:67] // set 0 if K_idx >= sizeL
	;; [unrolled: 1-line block ×10, first 2 shown]
s_nop 1
v_add_f32 v199, -v[vgprValuA_X4_I0+0+0+0+1], 0     // Ai=-Ai
v_mfma_f32_16x16x4_f32 v[0+0:3+0], v[vgprValuB_X4_I0+0+0+0], v[vgprValuA_X4_I0+0+0+0], v[0:3]
 // Cr += Ar*Br
v_mfma_f32_16x16x4_f32 v[20+0:23+0], v[vgprValuB_X4_I0+0+0+0], v[vgprValuA_X4_I0+0+0+0+1], v[20:23]
 // Ci += Ai*Br
v_mfma_f32_16x16x4_f32 v[0+0:3+0], v[vgprValuB_X4_I0+0+0+0+1], v199, v[0:3]
 // Cr += -Ai*Bi
v_mfma_f32_16x16x4_f32 v[20+0:23+0], v[vgprValuB_X4_I0+0+0+0+1], v[vgprValuA_X4_I0+0+0+0], v[20:23]
 // Ci += Ar*Bi
v_mfma_f32_16x16x4_f32 v[4+0:7+0], v[vgprValuB_X4_I0+2+0+0], v[vgprValuA_X4_I0+0+0+0], v[4:7]
 // Cr += Ar*Br
v_mfma_f32_16x16x4_f32 v[24+0:27+0], v[vgprValuB_X4_I0+2+0+0], v[vgprValuA_X4_I0+0+0+0+1], v[24:27]
 // Ci += Ai*Br
v_mfma_f32_16x16x4_f32 v[4+0:7+0], v[vgprValuB_X4_I0+2+0+0+1], v199, v[4:7]
 // Cr += -Ai*Bi
v_mfma_f32_16x16x4_f32 v[24+0:27+0], v[vgprValuB_X4_I0+2+0+0+1], v[vgprValuA_X4_I0+0+0+0], v[24:27]
 // Ci += Ar*Bi
	;; [unrolled: 8-line block ×5, first 2 shown]


/* closeLoop loopL finalLoop=0 tailLoop=1 */
s_sub_i32 s[sgprLoopCounterL], s[sgprLoopCounterL], 0x8 // dec counterL (tailLoop)
s_add_u32 s[sgprOrigLoopCounter], s[sgprOrigLoopCounter], 0x8 // inc counterL
s_cmp_le_i32 s[sgprLoopCounterL], 0x0              // counterL<=0
s_cbranch_scc1 TailLoopEndL_7                      // exit LoopL


/* tail loop unroll iter 5 */


/* local read a */

_ds_load_b64 v[vgprValuA_X5_I0+0:vgprValuA_X5_I0+0+1], v[vgprLocalReadAddrA] offset:0 // L -> Reg lro=0 swapByteOffset=0 ti=32 vIdx=0 rIdx=0 oIdx=0 buffer=5 iui=0


/* local read b */

_ds_load_b64 v[vgprValuB_X5_I0+0:vgprValuB_X5_I0+0+1], v[vgprLocalReadAddrB] offset:0 // L -> Reg lro=0 swapByteOffset=0 ti=16 vIdx=0 rIdx=0 oIdx=0 buffer=5 iui=0
_ds_load_b64 v[vgprValuB_X5_I0+2:vgprValuB_X5_I0+2+1], v[vgprLocalReadAddrB] offset:8704 // L -> Reg lro=0 swapByteOffset=0 ti=16 vIdx=1 rIdx=0 oIdx=0 buffer=5 iui=0
	;; [unrolled: 1-line block ×5, first 2 shown]


/* local read inc a */

s_mov_b32 s34, 0x800                               // inc
_v_add_co_u32 v[vgprLocalReadAddrA], vcc, s34, v[vgprLocalReadAddrA] // lrA += 2048 (LSU*(MT+PAD)*bpe)


/* local read inc b */

s_mov_b32 s34, 0x40                                // inc
_v_add_co_u32 v[vgprLocalReadAddrB], vcc, s34, v[vgprLocalReadAddrB] // lrB += 64 (LSU*bpe)

s_waitcnt lgkmcnt(0)                               // lgkmcnt=0 vmcnt=-14wait for local read


	;; [unrolled: 1-line block ×3, first 2 shown]
/* tail loop mfma iter 5: numReadsIterCoalescedA=1, numReadsIterCoalescedB=1 */
v_and_b32 v199, 63, v[vgprSerial]                  // v199 = v[vgprSerial] % 64
v_lshrrev_b32 v199, 4, v199                        // v199 = v199 / 16
                                                   // v199 = v199 * 1 (multiplier is 1, do nothing)
v_lshrrev_b32 v200, 7, v[vgprSerial]               // v200 = v[vgprSerial] / 128
v_lshlrev_b32 v200, 0x2, v200                      // v200 = v200 * 4
_v_add_u32 v199, v200, v199                        // k += sgid * kInterval*numReadsIterCoalesced
v_cmp_ge_i32 s[66:67], v199, s[sgprLoopCounterL]   // check K index >= Size L
v_cndmask_b32 v[vgprValuB_X5_I0+0+0+0+0], v[vgprValuB_X5_I0+0+0+0+0], 0x0, s[66:67] // set 0 if K_idx >= sizeL
v_cndmask_b32 v[vgprValuB_X5_I0+2+0+0+0], v[vgprValuB_X5_I0+2+0+0+0], 0x0, s[66:67] // set 0 if K_idx >= sizeL
	;; [unrolled: 1-line block ×10, first 2 shown]
s_nop 1
v_add_f32 v199, -v[vgprValuA_X5_I0+0+0+0+1], 0     // Ai=-Ai
v_mfma_f32_16x16x4_f32 v[0+0:3+0], v[vgprValuB_X5_I0+0+0+0], v[vgprValuA_X5_I0+0+0+0], v[0:3]
 // Cr += Ar*Br
v_mfma_f32_16x16x4_f32 v[20+0:23+0], v[vgprValuB_X5_I0+0+0+0], v[vgprValuA_X5_I0+0+0+0+1], v[20:23]
 // Ci += Ai*Br
v_mfma_f32_16x16x4_f32 v[0+0:3+0], v[vgprValuB_X5_I0+0+0+0+1], v199, v[0:3]
 // Cr += -Ai*Bi
v_mfma_f32_16x16x4_f32 v[20+0:23+0], v[vgprValuB_X5_I0+0+0+0+1], v[vgprValuA_X5_I0+0+0+0], v[20:23]
 // Ci += Ar*Bi
v_mfma_f32_16x16x4_f32 v[4+0:7+0], v[vgprValuB_X5_I0+2+0+0], v[vgprValuA_X5_I0+0+0+0], v[4:7]
 // Cr += Ar*Br
v_mfma_f32_16x16x4_f32 v[24+0:27+0], v[vgprValuB_X5_I0+2+0+0], v[vgprValuA_X5_I0+0+0+0+1], v[24:27]
 // Ci += Ai*Br
v_mfma_f32_16x16x4_f32 v[4+0:7+0], v[vgprValuB_X5_I0+2+0+0+1], v199, v[4:7]
 // Cr += -Ai*Bi
v_mfma_f32_16x16x4_f32 v[24+0:27+0], v[vgprValuB_X5_I0+2+0+0+1], v[vgprValuA_X5_I0+0+0+0], v[24:27]
 // Ci += Ar*Bi
	;; [unrolled: 8-line block ×5, first 2 shown]


/* closeLoop loopL finalLoop=0 tailLoop=1 */
s_sub_i32 s[sgprLoopCounterL], s[sgprLoopCounterL], 0x8 // dec counterL (tailLoop)
s_add_u32 s[sgprOrigLoopCounter], s[sgprOrigLoopCounter], 0x8 // inc counterL
s_cmp_le_i32 s[sgprLoopCounterL], 0x0              // counterL<=0
s_cbranch_scc1 TailLoopEndL_7                      // exit LoopL


/* tail loop unroll iter 6 */


/* local read a */

_ds_load_b64 v[vgprValuA_X6_I0+0:vgprValuA_X6_I0+0+1], v[vgprLocalReadAddrA] offset:0 // L -> Reg lro=0 swapByteOffset=0 ti=32 vIdx=0 rIdx=0 oIdx=0 buffer=6 iui=0


/* local read b */

_ds_load_b64 v[vgprValuB_X6_I0+0:vgprValuB_X6_I0+0+1], v[vgprLocalReadAddrB] offset:0 // L -> Reg lro=0 swapByteOffset=0 ti=16 vIdx=0 rIdx=0 oIdx=0 buffer=6 iui=0
_ds_load_b64 v[vgprValuB_X6_I0+2:vgprValuB_X6_I0+2+1], v[vgprLocalReadAddrB] offset:8704 // L -> Reg lro=0 swapByteOffset=0 ti=16 vIdx=1 rIdx=0 oIdx=0 buffer=6 iui=0
	;; [unrolled: 1-line block ×5, first 2 shown]


/* local read inc a */

s_mov_b32 s34, 0x800                               // inc
_v_add_co_u32 v[vgprLocalReadAddrA], vcc, s34, v[vgprLocalReadAddrA] // lrA += 2048 (LSU*(MT+PAD)*bpe)


/* local read inc b */

s_mov_b32 s34, 0x40                                // inc
_v_add_co_u32 v[vgprLocalReadAddrB], vcc, s34, v[vgprLocalReadAddrB] // lrB += 64 (LSU*bpe)

s_waitcnt lgkmcnt(0)                               // lgkmcnt=0 vmcnt=-14wait for local read


	;; [unrolled: 1-line block ×3, first 2 shown]
/* tail loop mfma iter 6: numReadsIterCoalescedA=1, numReadsIterCoalescedB=1 */
v_and_b32 v199, 63, v[vgprSerial]                  // v199 = v[vgprSerial] % 64
v_lshrrev_b32 v199, 4, v199                        // v199 = v199 / 16
                                                   // v199 = v199 * 1 (multiplier is 1, do nothing)
v_lshrrev_b32 v200, 7, v[vgprSerial]               // v200 = v[vgprSerial] / 128
v_lshlrev_b32 v200, 0x2, v200                      // v200 = v200 * 4
_v_add_u32 v199, v200, v199                        // k += sgid * kInterval*numReadsIterCoalesced
v_cmp_ge_i32 s[66:67], v199, s[sgprLoopCounterL]   // check K index >= Size L
v_cndmask_b32 v[vgprValuB_X6_I0+0+0+0+0], v[vgprValuB_X6_I0+0+0+0+0], 0x0, s[66:67] // set 0 if K_idx >= sizeL
v_cndmask_b32 v[vgprValuB_X6_I0+2+0+0+0], v[vgprValuB_X6_I0+2+0+0+0], 0x0, s[66:67] // set 0 if K_idx >= sizeL
	;; [unrolled: 1-line block ×10, first 2 shown]
s_nop 1
v_add_f32 v199, -v[vgprValuA_X6_I0+0+0+0+1], 0     // Ai=-Ai
v_mfma_f32_16x16x4_f32 v[0+0:3+0], v[vgprValuB_X6_I0+0+0+0], v[vgprValuA_X6_I0+0+0+0], v[0:3]
 // Cr += Ar*Br
v_mfma_f32_16x16x4_f32 v[20+0:23+0], v[vgprValuB_X6_I0+0+0+0], v[vgprValuA_X6_I0+0+0+0+1], v[20:23]
 // Ci += Ai*Br
v_mfma_f32_16x16x4_f32 v[0+0:3+0], v[vgprValuB_X6_I0+0+0+0+1], v199, v[0:3]
 // Cr += -Ai*Bi
v_mfma_f32_16x16x4_f32 v[20+0:23+0], v[vgprValuB_X6_I0+0+0+0+1], v[vgprValuA_X6_I0+0+0+0], v[20:23]
 // Ci += Ar*Bi
v_mfma_f32_16x16x4_f32 v[4+0:7+0], v[vgprValuB_X6_I0+2+0+0], v[vgprValuA_X6_I0+0+0+0], v[4:7]
 // Cr += Ar*Br
v_mfma_f32_16x16x4_f32 v[24+0:27+0], v[vgprValuB_X6_I0+2+0+0], v[vgprValuA_X6_I0+0+0+0+1], v[24:27]
 // Ci += Ai*Br
v_mfma_f32_16x16x4_f32 v[4+0:7+0], v[vgprValuB_X6_I0+2+0+0+1], v199, v[4:7]
 // Cr += -Ai*Bi
v_mfma_f32_16x16x4_f32 v[24+0:27+0], v[vgprValuB_X6_I0+2+0+0+1], v[vgprValuA_X6_I0+0+0+0], v[24:27]
 // Ci += Ar*Bi
	;; [unrolled: 8-line block ×5, first 2 shown]


/* closeLoop loopL finalLoop=0 tailLoop=1 */
s_sub_i32 s[sgprLoopCounterL], s[sgprLoopCounterL], 0x8 // dec counterL (tailLoop)
s_add_u32 s[sgprOrigLoopCounter], s[sgprOrigLoopCounter], 0x8 // inc counterL
s_cmp_le_i32 s[sgprLoopCounterL], 0x0              // counterL<=0
s_cbranch_scc1 TailLoopEndL_7                      // exit LoopL


/* tail loop unroll iter 7 */


/* local read a */

_ds_load_b64 v[vgprValuA_X7_I0+0:vgprValuA_X7_I0+0+1], v[vgprLocalReadAddrA] offset:0 // L -> Reg lro=0 swapByteOffset=0 ti=32 vIdx=0 rIdx=0 oIdx=0 buffer=7 iui=0


/* local read b */

_ds_load_b64 v[vgprValuB_X7_I0+0:vgprValuB_X7_I0+0+1], v[vgprLocalReadAddrB] offset:0 // L -> Reg lro=0 swapByteOffset=0 ti=16 vIdx=0 rIdx=0 oIdx=0 buffer=7 iui=0
_ds_load_b64 v[vgprValuB_X7_I0+2:vgprValuB_X7_I0+2+1], v[vgprLocalReadAddrB] offset:8704 // L -> Reg lro=0 swapByteOffset=0 ti=16 vIdx=1 rIdx=0 oIdx=0 buffer=7 iui=0
	;; [unrolled: 1-line block ×5, first 2 shown]


/* local read inc a */

s_mov_b32 s34, 0x800                               // inc
_v_add_co_u32 v[vgprLocalReadAddrA], vcc, s34, v[vgprLocalReadAddrA] // lrA += 2048 (LSU*(MT+PAD)*bpe)


/* local read inc b */

s_mov_b32 s34, 0x60                                // inc
_v_add_co_u32 v[vgprLocalReadAddrB], vcc, s34, v[vgprLocalReadAddrB] // lrB += 96 (LSU*bpe)

s_waitcnt lgkmcnt(0)                               // lgkmcnt=0 vmcnt=-14wait for local read


	;; [unrolled: 1-line block ×3, first 2 shown]
/* tail loop mfma iter 7: numReadsIterCoalescedA=1, numReadsIterCoalescedB=1 */
v_and_b32 v199, 63, v[vgprSerial]                  // v199 = v[vgprSerial] % 64
v_lshrrev_b32 v199, 4, v199                        // v199 = v199 / 16
                                                   // v199 = v199 * 1 (multiplier is 1, do nothing)
v_lshrrev_b32 v200, 7, v[vgprSerial]               // v200 = v[vgprSerial] / 128
v_lshlrev_b32 v200, 0x2, v200                      // v200 = v200 * 4
_v_add_u32 v199, v200, v199                        // k += sgid * kInterval*numReadsIterCoalesced
v_cmp_ge_i32 s[66:67], v199, s[sgprLoopCounterL]   // check K index >= Size L
v_cndmask_b32 v[vgprValuB_X7_I0+0+0+0+0], v[vgprValuB_X7_I0+0+0+0+0], 0x0, s[66:67] // set 0 if K_idx >= sizeL
v_cndmask_b32 v[vgprValuB_X7_I0+2+0+0+0], v[vgprValuB_X7_I0+2+0+0+0], 0x0, s[66:67] // set 0 if K_idx >= sizeL
	;; [unrolled: 1-line block ×10, first 2 shown]
s_nop 1
v_add_f32 v199, -v[vgprValuA_X7_I0+0+0+0+1], 0     // Ai=-Ai
v_mfma_f32_16x16x4_f32 v[0+0:3+0], v[vgprValuB_X7_I0+0+0+0], v[vgprValuA_X7_I0+0+0+0], v[0:3]
 // Cr += Ar*Br
v_mfma_f32_16x16x4_f32 v[20+0:23+0], v[vgprValuB_X7_I0+0+0+0], v[vgprValuA_X7_I0+0+0+0+1], v[20:23]
 // Ci += Ai*Br
v_mfma_f32_16x16x4_f32 v[0+0:3+0], v[vgprValuB_X7_I0+0+0+0+1], v199, v[0:3]
 // Cr += -Ai*Bi
v_mfma_f32_16x16x4_f32 v[20+0:23+0], v[vgprValuB_X7_I0+0+0+0+1], v[vgprValuA_X7_I0+0+0+0], v[20:23]
 // Ci += Ar*Bi
v_mfma_f32_16x16x4_f32 v[4+0:7+0], v[vgprValuB_X7_I0+2+0+0], v[vgprValuA_X7_I0+0+0+0], v[4:7]
 // Cr += Ar*Br
v_mfma_f32_16x16x4_f32 v[24+0:27+0], v[vgprValuB_X7_I0+2+0+0], v[vgprValuA_X7_I0+0+0+0+1], v[24:27]
 // Ci += Ai*Br
v_mfma_f32_16x16x4_f32 v[4+0:7+0], v[vgprValuB_X7_I0+2+0+0+1], v199, v[4:7]
 // Cr += -Ai*Bi
v_mfma_f32_16x16x4_f32 v[24+0:27+0], v[vgprValuB_X7_I0+2+0+0+1], v[vgprValuA_X7_I0+0+0+0], v[24:27]
 // Ci += Ar*Bi
	;; [unrolled: 8-line block ×5, first 2 shown]


/* closeLoop loopL finalLoop=1 tailLoop=1 */
s_sub_i32 s[sgprLoopCounterL], s[sgprLoopCounterL], 0x8 // dec counterL (tailLoop)
s_add_u32 s[sgprOrigLoopCounter], s[sgprOrigLoopCounter], 0x8 // inc counterL
s_cmp_le_i32 s[sgprLoopCounterL], 0x0              // counterL<=0
s_cbranch_scc0 TailLoopBeginL_6                    // restart LoopL
TailLoopEndL_7:

SkipTailLoopL_8:

Summation_End_19:
/* endSummation: add vgpr [40...196) to pool */
.set ScalarGlobalReadOffsetB, UNDEF

/* Mapping of Acc register -> C Vgpr register */

/* Multiply MI out register with Alpha -> C Vgpr register */


	;; [unrolled: 1-line block ×3, first 2 shown]
/******************************************/
/* LocalSplitU Reduction                  */
/******************************************/

// Skip force waitcnt0
s_barrier //


/* LocalSplitU: local write */


/* Mapping of Acc register -> C Vgpr register */
v_lshrrev_b32 v44, 6, v[vgprSerial]                // v44 = v[vgprSerial] / 64
v_lshrrev_b32 v42, 1, v44                          // v42 = v44 / 2
v_and_b32 v43, 1, v44                              // v43 = v44 % 2
v_and_b32 v41, 63, v[vgprSerial]                   // v41 = v[vgprSerial] % 64
v_lshrrev_b32 v41, 4, v41                          // v41 = v41 / 16
v_lshlrev_b32 v41, 0x2, v41                        // thread0 * continuous_output
                                                   // coordination 1 *= vwB (multiplier is 1, do nothing)
v_lshlrev_b32 v41, 0x8, v41                        // coordination 1 *= (MT0*bpe)
s_mov_b32 s34, 0x5000                              // sgOffset = sg_id * (MT0*MT1*bpe)
v_mul_lo_u32 v42, s34, v42                         // sgOffset = sg_id * (MT0*MT1*bpe)
_v_add_u32 v41, v42, v41                           // tid1 += sgOffset
v_and_b32 v40, 15, v[vgprSerial]                   // v40 = v[vgprSerial] % 16
v_and_b32 v44, 1, v43                              // v44 = v43 % 2
v_mul_lo_u32 v44, 0x10, v44                        // wave coordination offset 0
_v_add_u32 v40, v44, v40                           // tid0 += wave coordination offset 0
v_lshlrev_b32 v40, 0x3, v40                        // coordination 0 *= (VWA*bpe)
_v_add_u32 v40, v41, v40                           // tid = tid0 + tid1
v_mov_b32 v[vgprValuC+42], v[vgprValuC+0] // copy MI out reg to vreg[0]
v_mov_b32 v[vgprValuC+43], v[vgprValuC+20] // copy MI out reg to vreg[1]
_ds_store_b64 v40, v[vgprValuC+42:vgprValuC+42+1], offset:0 // 
v_mov_b32 v[vgprValuC+42], v[vgprValuC+1] // copy MI out reg to vreg[2]
v_mov_b32 v[vgprValuC+43], v[vgprValuC+21] // copy MI out reg to vreg[3]
_ds_store_b64 v40, v[vgprValuC+42:vgprValuC+42+1], offset:256 // 
	;; [unrolled: 3-line block ×20, first 2 shown]
s_waitcnt lgkmcnt(0)                               // wait for all writes
// Skip force waitcnt0
s_barrier //post-lsu local write


/* LocalSplitU: local read */

v_lshlrev_b32 v40, 0x3, v[vgprSerial]              // v40 = v[vgprSerial] * 8
_ds_load_b64 v[vgprValuC+0:vgprValuC+0+1], v40, offset:0 // r=0 i=0 s=0
_ds_load_b64 v[vgprValuC+2:vgprValuC+2+1], v40, offset:2048 // r=0 i=1 s=0
	;; [unrolled: 1-line block ×20, first 2 shown]
s_waitcnt lgkmcnt(0)                               // wait for all reads


/* LocalSplitU: reduction */

v_add_f32 v[vgprValuC+0], v[vgprValuC+20], v[vgprValuC+0] // c[0] += c[20], real part
v_add_f32 v[vgprValuC+1], v[vgprValuC+21], v[vgprValuC+1] // c[1] += c[21], imaginary part
v_add_f32 v[vgprValuC+2], v[vgprValuC+22], v[vgprValuC+2] // c[2] += c[22], real part
v_add_f32 v[vgprValuC+3], v[vgprValuC+23], v[vgprValuC+3] // c[3] += c[23], imaginary part
	;; [unrolled: 2-line block ×10, first 2 shown]


/* LocalSplitU: global write indices */

/* computeStoreVgprs */
v_lshrrev_b32 v41, 5, v[vgprSerial]                // v41 = v[vgprSerial] / 32
v_and_b32 v40, 31, v[vgprSerial]                   // v40 = v[vgprSerial] % 32
                                                   // v40 = v40 * 1 (multiplier is 1, do nothing)
v_mul_lo_u32 v42, v41, s[sgprStrideC1J]            // rowStart vgpr
v_mul_lo_u32 v43, v41, s[sgprStrideD1J]            // rowStart vgpr

s_mul_i32 s54, 0x20, s[sgprWorkGroup0]             // s54 = wg0*MT0
_v_add_co_u32 v40, vcc, s54, v40                   // coord0 = tid0*VW + wg0*MT0
s_mul_i32 s56, 0x50, s[sgprWorkGroup1]             // <- wg1*MT1
_v_add_co_u32 v41, vcc, s56, v41                   // coord1 = tid1*VW + wg1*MT1


/* LocalSplitU: global write */

s_mov_b32 s34, s[sgprBeta+0]                       // tmp = Beta[0]
s_or_b32 s34, s[sgprBeta+1], s34                   // tmp |= Beta[1] 
s_cmpk_eq_u32 s34, 0x0                             // Beta == 0
s_cbranch_scc0 GW_Beta_34                          // Branch if Beta is not zero

s_and_b32 s54, 31, s[sgprSizeI]                    // s54 = s[sgprSizeI] % 32
s_add_u32 s55, -0x1, s[sgprNumWorkGroups0]         // 
s_cmp_ge_u32 s[sgprWorkGroup0], s55                // wg0 >= nwg0-1 ?
s_cselect_b32 s54, s54, 0                          // set rMT0
s_cmpk_gt_u32 s54, 0x0                             // rMT0 > 0
s_cbranch_scc1 GW_B0_E1_25                         // jump if edges required
s_mov_b32 s57, 0x0                                 // STATIC_DIV: divisior=80
s_mul_i32 s56, 0x666, s[sgprSizeJ]                 // tmp1 = dividend * magic hi
s_lshl_b64 s[56:57], s[56:57], 0x10                // left shift 16 bits
s_mul_i32 s55, s[sgprSizeJ], 0x6667                // tmp0 = dividend * magic lo
s_add_u32 s56, s55, s56                            // add lo
s_addc_u32 s57, s57, 0x0                           // add hi
s_lshr_b64 s[56:57], s[56:57], 0x21                // tmp1 = (dividend * magic) << shift
s_mov_b32 s55, s56                                 // quotient
s_mul_i32 s56, s55, 0x50                           // quotient*divisor
s_sub_u32 s54, s[sgprSizeJ], s56                   // rReg = dividend - quotient*divisor
s_add_u32 s55, -0x1, s[sgprNumWorkGroups1]         // 
s_cmp_ge_u32 s[sgprWorkGroup1], s55                // wg1 >= nwg1-1
s_cselect_b32 s54, s54, 0                          // set rMT1
s_cmpk_gt_u32 s54, 0x0                             // rMT1 > 0
s_cbranch_scc1 GW_B0_E1_25                         // jump if edges required
GW_B0_E0_22:

/* edge=0, allocate 2 sgpr. perBatchTmpS=2 perBatchMaskS=0 perElementMaskS=0 elementsPerBatch=4 */
/* optSingleColVgpr=1 optSharedColVgpr=0 optSGPRUsage=BufferLoad_Mask optSrdIncForRow=1 */

/******************************************/
/* Global Write Alpha Batch #0 (d1,d0,vc1,vc0) = */
/*    (0,0,0,0:vw1); (1,0,0,0:vw1); (2,0,0,0:vw1); (3,0,0,0:vw1) */
/******************************************/

/* calc coords, apply mask, and issue loads (if necessary) */
/* (d1,vc1,d0,vc0)=(0,0,0,0) */
/* (d1,vc1,d0,vc0)=(1,0,0,0) */
	;; [unrolled: 1-line block ×4, first 2 shown]
_v_add_lshl_u32 v46, v43, v40, 0x3                 // optSingleColVgpr scaleToBpe: sharedAddrVgpr <- cinRowPtr + coord0, scaled by BPE. BSHERE:coord0=40, coord0Vgpr=40

/* rC *= alpha batchElements=[(0, 0, 0, 0), (1, 0, 0, 0), (2, 0, 0, 0), (3, 0, 0, 0)] */
v_mov_b32 v48, v[vgprValuC+0]                      // store Cr
v_mul_f32 v[vgprValuC+0], s[sgprAlpha], v[vgprValuC+0] // *= alpha ( Cr = Ar * Cr)
_v_mac_f32 v[vgprValuC+0], -s[sgprAlpha+1], v[vgprValuC+1] // *= alpha ( Cr += -Ai * Ci )
v_mul_f32 v[vgprValuC+1], s[sgprAlpha], v[vgprValuC+1] // *= alpha ( Ci = Ar * Ci)
_v_mac_f32 v[vgprValuC+1], s[sgprAlpha+1], v48     // *= alpha ( Ci += Ai * Cr_backup )
v_mov_b32 v48, v[vgprValuC+2]                      // store Cr
v_mul_f32 v[vgprValuC+2], s[sgprAlpha], v[vgprValuC+2] // *= alpha ( Cr = Ar * Cr)
_v_mac_f32 v[vgprValuC+2], -s[sgprAlpha+1], v[vgprValuC+3] // *= alpha ( Cr += -Ai * Ci )
v_mul_f32 v[vgprValuC+3], s[sgprAlpha], v[vgprValuC+3] // *= alpha ( Ci = Ar * Ci)
_v_mac_f32 v[vgprValuC+3], s[sgprAlpha+1], v48     // *= alpha ( Ci += Ai * Cr_backup )
	;; [unrolled: 5-line block ×4, first 2 shown]

/* apply mask, calc new C and issue writes */
_buffer_store_b64 v[0:1], v46, s[sgprSrdD:sgprSrdD+3], 0, offen, offset:0 // store D
s_mul_i32 s34, s[sgprStrideD1J], 64                // scale StrideD *= numRows(8) * bpe
s_add_u32  s[sgprSrdD+0], s[sgprSrdD+0], s34       // incToNextRow: gra SRD += inc(lower)
s_addc_u32  s[sgprSrdD+1], s[sgprSrdD+1], 0        // incToNextRow: gra SRD += inc(upper)
_buffer_store_b64 v[2:3], v46, s[sgprSrdD:sgprSrdD+3], 0, offen, offset:0 // store D
s_mul_i32 s34, s[sgprStrideD1J], 64                // scale StrideD *= numRows(8) * bpe
s_add_u32  s[sgprSrdD+0], s[sgprSrdD+0], s34       // incToNextRow: gra SRD += inc(lower)
s_addc_u32  s[sgprSrdD+1], s[sgprSrdD+1], 0        // incToNextRow: gra SRD += inc(upper)
	;; [unrolled: 4-line block ×3, first 2 shown]
_buffer_store_b64 v[6:7], v46, s[sgprSrdD:sgprSrdD+3], 0, offen, offset:0 // store D
/* optSingleColVgpr=1 optSharedColVgpr=0 optSGPRUsage=BufferLoad_Mask optSrdIncForRow=1 */

/******************************************/
/* Global Write Alpha Batch #1 (d1,d0,vc1,vc0) = */
/*    (4,0,0,0:vw1); (5,0,0,0:vw1); (6,0,0,0:vw1); (7,0,0,0:vw1) */
/******************************************/

/* calc coords, apply mask, and issue loads (if necessary) */
/* (d1,vc1,d0,vc0)=(4,0,0,0) */
/* (d1,vc1,d0,vc0)=(5,0,0,0) */
	;; [unrolled: 1-line block ×4, first 2 shown]

/* rC *= alpha batchElements=[(4, 0, 0, 0), (5, 0, 0, 0), (6, 0, 0, 0), (7, 0, 0, 0)] */
v_mov_b32 v48, v[vgprValuC+8]                      // store Cr
v_mul_f32 v[vgprValuC+8], s[sgprAlpha], v[vgprValuC+8] // *= alpha ( Cr = Ar * Cr)
_v_mac_f32 v[vgprValuC+8], -s[sgprAlpha+1], v[vgprValuC+9] // *= alpha ( Cr += -Ai * Ci )
v_mul_f32 v[vgprValuC+9], s[sgprAlpha], v[vgprValuC+9] // *= alpha ( Ci = Ar * Ci)
_v_mac_f32 v[vgprValuC+9], s[sgprAlpha+1], v48     // *= alpha ( Ci += Ai * Cr_backup )
v_mov_b32 v48, v[vgprValuC+10]                     // store Cr
v_mul_f32 v[vgprValuC+10], s[sgprAlpha], v[vgprValuC+10] // *= alpha ( Cr = Ar * Cr)
_v_mac_f32 v[vgprValuC+10], -s[sgprAlpha+1], v[vgprValuC+11] // *= alpha ( Cr += -Ai * Ci )
v_mul_f32 v[vgprValuC+11], s[sgprAlpha], v[vgprValuC+11] // *= alpha ( Ci = Ar * Ci)
_v_mac_f32 v[vgprValuC+11], s[sgprAlpha+1], v48    // *= alpha ( Ci += Ai * Cr_backup )
v_mov_b32 v48, v[vgprValuC+12]                     // store Cr
v_mul_f32 v[vgprValuC+12], s[sgprAlpha], v[vgprValuC+12] // *= alpha ( Cr = Ar * Cr)
_v_mac_f32 v[vgprValuC+12], -s[sgprAlpha+1], v[vgprValuC+13] // *= alpha ( Cr += -Ai * Ci )
v_mul_f32 v[vgprValuC+13], s[sgprAlpha], v[vgprValuC+13] // *= alpha ( Ci = Ar * Ci)
_v_mac_f32 v[vgprValuC+13], s[sgprAlpha+1], v48    // *= alpha ( Ci += Ai * Cr_backup )
	;; [unrolled: 5-line block ×3, first 2 shown]

/* apply mask, calc new C and issue writes */
s_mul_i32 s34, s[sgprStrideD1J], 64                // scale StrideD *= numRows(8) * bpe
s_add_u32  s[sgprSrdD+0], s[sgprSrdD+0], s34       // incToNextRow: gra SRD += inc(lower)
s_addc_u32  s[sgprSrdD+1], s[sgprSrdD+1], 0        // incToNextRow: gra SRD += inc(upper)
_buffer_store_b64 v[8:9], v46, s[sgprSrdD:sgprSrdD+3], 0, offen, offset:0 // store D
s_mul_i32 s34, s[sgprStrideD1J], 64                // scale StrideD *= numRows(8) * bpe
s_add_u32  s[sgprSrdD+0], s[sgprSrdD+0], s34       // incToNextRow: gra SRD += inc(lower)
s_addc_u32  s[sgprSrdD+1], s[sgprSrdD+1], 0        // incToNextRow: gra SRD += inc(upper)
_buffer_store_b64 v[10:11], v46, s[sgprSrdD:sgprSrdD+3], 0, offen, offset:0 // store D
	;; [unrolled: 4-line block ×4, first 2 shown]
/* optSingleColVgpr=1 optSharedColVgpr=0 optSGPRUsage=BufferLoad_Mask optSrdIncForRow=1 */

/******************************************/
/* Global Write Alpha Batch #2 (d1,d0,vc1,vc0) = */
/*    (8,0,0,0:vw1); (9,0,0,0:vw1)        */
/******************************************/

/* calc coords, apply mask, and issue loads (if necessary) */
/* (d1,vc1,d0,vc0)=(8,0,0,0) */
/* (d1,vc1,d0,vc0)=(9,0,0,0) */

/* rC *= alpha batchElements=[(8, 0, 0, 0), (9, 0, 0, 0)] */
v_mov_b32 v48, v[vgprValuC+16]                     // store Cr
v_mul_f32 v[vgprValuC+16], s[sgprAlpha], v[vgprValuC+16] // *= alpha ( Cr = Ar * Cr)
_v_mac_f32 v[vgprValuC+16], -s[sgprAlpha+1], v[vgprValuC+17] // *= alpha ( Cr += -Ai * Ci )
v_mul_f32 v[vgprValuC+17], s[sgprAlpha], v[vgprValuC+17] // *= alpha ( Ci = Ar * Ci)
_v_mac_f32 v[vgprValuC+17], s[sgprAlpha+1], v48    // *= alpha ( Ci += Ai * Cr_backup )
v_mov_b32 v48, v[vgprValuC+18]                     // store Cr
v_mul_f32 v[vgprValuC+18], s[sgprAlpha], v[vgprValuC+18] // *= alpha ( Cr = Ar * Cr)
_v_mac_f32 v[vgprValuC+18], -s[sgprAlpha+1], v[vgprValuC+19] // *= alpha ( Cr += -Ai * Ci )
v_mul_f32 v[vgprValuC+19], s[sgprAlpha], v[vgprValuC+19] // *= alpha ( Ci = Ar * Ci)
_v_mac_f32 v[vgprValuC+19], s[sgprAlpha+1], v48    // *= alpha ( Ci += Ai * Cr_backup )

/* apply mask, calc new C and issue writes */
s_mul_i32 s34, s[sgprStrideD1J], 64                // scale StrideD *= numRows(8) * bpe
s_add_u32  s[sgprSrdD+0], s[sgprSrdD+0], s34       // incToNextRow: gra SRD += inc(lower)
s_addc_u32  s[sgprSrdD+1], s[sgprSrdD+1], 0        // incToNextRow: gra SRD += inc(upper)
_buffer_store_b64 v[16:17], v46, s[sgprSrdD:sgprSrdD+3], 0, offen, offset:0 // store D
s_mul_i32 s34, s[sgprStrideD1J], 64                // scale StrideD *= numRows(8) * bpe
s_add_u32  s[sgprSrdD+0], s[sgprSrdD+0], s34       // incToNextRow: gra SRD += inc(lower)
s_addc_u32  s[sgprSrdD+1], s[sgprSrdD+1], 0        // incToNextRow: gra SRD += inc(upper)
_buffer_store_b64 v[18:19], v46, s[sgprSrdD:sgprSrdD+3], 0, offen, offset:0 // store D
s_branch label_GW_End_33                           // jump to end
GW_B0_E1_25:

/* edge=1, allocate 6 sgpr. perBatchTmpS=4 perBatchMaskS=2 perElementMaskS=0 elementsPerBatch=4 */
/* optSingleColVgpr=0 optSharedColVgpr=0 optSGPRUsage=BufferLoad_Edge_Mask optSrdIncForRow=0 */

/******************************************/
/* Global Write Alpha Edge Batch #0 (d1,d0,vc1,vc0) = */
/*    (0,0,0,0:vw1); (1,0,0,0:vw1); (2,0,0,0:vw1); (3,0,0,0:vw1) */
/******************************************/

/* calc coords, apply mask, and issue loads (if necessary) */
/* (d1,vc1,d0,vc0)=(0,0,0,0) */
v_cmp_lt_u32 s[54:55], v40, s[sgprSizeI]           // coord0 < size0
v_cmp_lt_u32 s[58:59], v41, s[sgprSizeJ]           // coord1 < size1
s_and_b64 s[58:59], s[54:55], s[58:59]             // in0 && in1
_v_add_lshl_u32 v46, v43, v40, 0x3                 // scaleToBpe: accumulate d0 lower and *= bpe into Cin addr
v_cndmask_b32 v46, -1, v46, s[58:59]               // LDD clip if OOB. offset
/* (d1,vc1,d0,vc0)=(1,0,0,0) */
_v_add_co_u32 v41, vcc, v41, 8                     // coord1.1: coord1Vgpr += d1*sg1*VW + vc1

/* Fix for UseInitialStridesCD, emitAddressSetupCode */
s_mul_i32 s54, s[sgprStrideC1J], 8                 // scale stride
_v_add_u32 v42, v42, s54                           // ROWINC- Move cinRowPtr to next row
s_mul_i32 s54, s[sgprStrideD1J], 8                 // scale stride
_v_add_u32 v43, v43, s54                           // Move coutRowPtr to next row
v_cmp_lt_u32 s[54:55], v40, s[sgprSizeI]           // coord0 < size0
v_cmp_lt_u32 s[58:59], v41, s[sgprSizeJ]           // coord1 < size1
s_and_b64 s[58:59], s[54:55], s[58:59]             // in0 && in1
_v_add_lshl_u32 v47, v43, v40, 0x3                 // scaleToBpe: accumulate d0 lower and *= bpe into Cin addr
v_cndmask_b32 v47, -1, v47, s[58:59]               // LDD clip if OOB. offset
/* (d1,vc1,d0,vc0)=(2,0,0,0) */
_v_add_co_u32 v41, vcc, v41, 8                     // coord1.1: coord1Vgpr += d1*sg1*VW + vc1

/* Fix for UseInitialStridesCD, emitAddressSetupCode */
s_mul_i32 s54, s[sgprStrideC1J], 8                 // scale stride
_v_add_u32 v42, v42, s54                           // ROWINC- Move cinRowPtr to next row
s_mul_i32 s54, s[sgprStrideD1J], 8                 // scale stride
_v_add_u32 v43, v43, s54                           // Move coutRowPtr to next row
	;; [unrolled: 13-line block ×3, first 2 shown]
v_cmp_lt_u32 s[54:55], v40, s[sgprSizeI]           // coord0 < size0
v_cmp_lt_u32 s[58:59], v41, s[sgprSizeJ]           // coord1 < size1
s_and_b64 s[58:59], s[54:55], s[58:59]             // in0 && in1
_v_add_lshl_u32 v49, v43, v40, 0x3                 // scaleToBpe: accumulate d0 lower and *= bpe into Cin addr
v_cndmask_b32 v49, -1, v49, s[58:59]               // LDD clip if OOB. offset

/* rC *= alpha batchElements=[(0, 0, 0, 0), (1, 0, 0, 0), (2, 0, 0, 0), (3, 0, 0, 0)] */
v_mov_b32 v50, v[vgprValuC+0]                      // store Cr
v_mul_f32 v[vgprValuC+0], s[sgprAlpha], v[vgprValuC+0] // *= alpha ( Cr = Ar * Cr)
_v_mac_f32 v[vgprValuC+0], -s[sgprAlpha+1], v[vgprValuC+1] // *= alpha ( Cr += -Ai * Ci )
v_mul_f32 v[vgprValuC+1], s[sgprAlpha], v[vgprValuC+1] // *= alpha ( Ci = Ar * Ci)
_v_mac_f32 v[vgprValuC+1], s[sgprAlpha+1], v50     // *= alpha ( Ci += Ai * Cr_backup )
v_mov_b32 v50, v[vgprValuC+2]                      // store Cr
v_mul_f32 v[vgprValuC+2], s[sgprAlpha], v[vgprValuC+2] // *= alpha ( Cr = Ar * Cr)
_v_mac_f32 v[vgprValuC+2], -s[sgprAlpha+1], v[vgprValuC+3] // *= alpha ( Cr += -Ai * Ci )
v_mul_f32 v[vgprValuC+3], s[sgprAlpha], v[vgprValuC+3] // *= alpha ( Ci = Ar * Ci)
_v_mac_f32 v[vgprValuC+3], s[sgprAlpha+1], v50     // *= alpha ( Ci += Ai * Cr_backup )
	;; [unrolled: 5-line block ×4, first 2 shown]

/* apply mask, calc new C and issue writes */
_buffer_store_b64 v[0:1], v46, s[sgprSrdD:sgprSrdD+3], 0, offen, offset:0 // store D
_buffer_store_b64 v[2:3], v47, s[sgprSrdD:sgprSrdD+3], 0, offen, offset:0 // store D
	;; [unrolled: 1-line block ×4, first 2 shown]
/* optSingleColVgpr=0 optSharedColVgpr=0 optSGPRUsage=BufferLoad_Edge_Mask optSrdIncForRow=0 */

/******************************************/
/* Global Write Alpha Edge Batch #1 (d1,d0,vc1,vc0) = */
/*    (4,0,0,0:vw1); (5,0,0,0:vw1); (6,0,0,0:vw1); (7,0,0,0:vw1) */
/******************************************/

/* calc coords, apply mask, and issue loads (if necessary) */
/* (d1,vc1,d0,vc0)=(4,0,0,0) */
_v_add_co_u32 v41, vcc, v41, 8                     // coord1.1: coord1Vgpr += d1*sg1*VW + vc1

/* Fix for UseInitialStridesCD, emitAddressSetupCode */
s_mul_i32 s54, s[sgprStrideC1J], 8                 // scale stride
_v_add_u32 v42, v42, s54                           // ROWINC- Move cinRowPtr to next row
s_mul_i32 s54, s[sgprStrideD1J], 8                 // scale stride
_v_add_u32 v43, v43, s54                           // Move coutRowPtr to next row
v_cmp_lt_u32 s[54:55], v40, s[sgprSizeI]           // coord0 < size0
v_cmp_lt_u32 s[58:59], v41, s[sgprSizeJ]           // coord1 < size1
s_and_b64 s[58:59], s[54:55], s[58:59]             // in0 && in1
_v_add_lshl_u32 v46, v43, v40, 0x3                 // scaleToBpe: accumulate d0 lower and *= bpe into Cin addr
v_cndmask_b32 v46, -1, v46, s[58:59]               // LDD clip if OOB. offset
/* (d1,vc1,d0,vc0)=(5,0,0,0) */
_v_add_co_u32 v41, vcc, v41, 8                     // coord1.1: coord1Vgpr += d1*sg1*VW + vc1

/* Fix for UseInitialStridesCD, emitAddressSetupCode */
s_mul_i32 s54, s[sgprStrideC1J], 8                 // scale stride
_v_add_u32 v42, v42, s54                           // ROWINC- Move cinRowPtr to next row
s_mul_i32 s54, s[sgprStrideD1J], 8                 // scale stride
_v_add_u32 v43, v43, s54                           // Move coutRowPtr to next row
v_cmp_lt_u32 s[54:55], v40, s[sgprSizeI]           // coord0 < size0
v_cmp_lt_u32 s[58:59], v41, s[sgprSizeJ]           // coord1 < size1
s_and_b64 s[58:59], s[54:55], s[58:59]             // in0 && in1
_v_add_lshl_u32 v47, v43, v40, 0x3                 // scaleToBpe: accumulate d0 lower and *= bpe into Cin addr
v_cndmask_b32 v47, -1, v47, s[58:59]               // LDD clip if OOB. offset
	;; [unrolled: 13-line block ×4, first 2 shown]

/* rC *= alpha batchElements=[(4, 0, 0, 0), (5, 0, 0, 0), (6, 0, 0, 0), (7, 0, 0, 0)] */
v_mov_b32 v50, v[vgprValuC+8]                      // store Cr
v_mul_f32 v[vgprValuC+8], s[sgprAlpha], v[vgprValuC+8] // *= alpha ( Cr = Ar * Cr)
_v_mac_f32 v[vgprValuC+8], -s[sgprAlpha+1], v[vgprValuC+9] // *= alpha ( Cr += -Ai * Ci )
v_mul_f32 v[vgprValuC+9], s[sgprAlpha], v[vgprValuC+9] // *= alpha ( Ci = Ar * Ci)
_v_mac_f32 v[vgprValuC+9], s[sgprAlpha+1], v50     // *= alpha ( Ci += Ai * Cr_backup )
v_mov_b32 v50, v[vgprValuC+10]                     // store Cr
v_mul_f32 v[vgprValuC+10], s[sgprAlpha], v[vgprValuC+10] // *= alpha ( Cr = Ar * Cr)
_v_mac_f32 v[vgprValuC+10], -s[sgprAlpha+1], v[vgprValuC+11] // *= alpha ( Cr += -Ai * Ci )
v_mul_f32 v[vgprValuC+11], s[sgprAlpha], v[vgprValuC+11] // *= alpha ( Ci = Ar * Ci)
_v_mac_f32 v[vgprValuC+11], s[sgprAlpha+1], v50    // *= alpha ( Ci += Ai * Cr_backup )
v_mov_b32 v50, v[vgprValuC+12]                     // store Cr
v_mul_f32 v[vgprValuC+12], s[sgprAlpha], v[vgprValuC+12] // *= alpha ( Cr = Ar * Cr)
_v_mac_f32 v[vgprValuC+12], -s[sgprAlpha+1], v[vgprValuC+13] // *= alpha ( Cr += -Ai * Ci )
v_mul_f32 v[vgprValuC+13], s[sgprAlpha], v[vgprValuC+13] // *= alpha ( Ci = Ar * Ci)
_v_mac_f32 v[vgprValuC+13], s[sgprAlpha+1], v50    // *= alpha ( Ci += Ai * Cr_backup )
	;; [unrolled: 5-line block ×3, first 2 shown]

/* apply mask, calc new C and issue writes */
_buffer_store_b64 v[8:9], v46, s[sgprSrdD:sgprSrdD+3], 0, offen, offset:0 // store D
_buffer_store_b64 v[10:11], v47, s[sgprSrdD:sgprSrdD+3], 0, offen, offset:0 // store D
	;; [unrolled: 1-line block ×4, first 2 shown]
/* optSingleColVgpr=0 optSharedColVgpr=0 optSGPRUsage=BufferLoad_Edge_Mask optSrdIncForRow=0 */

/******************************************/
/* Global Write Alpha Edge Batch #2 (d1,d0,vc1,vc0) = */
/*    (8,0,0,0:vw1); (9,0,0,0:vw1)        */
/******************************************/

/* calc coords, apply mask, and issue loads (if necessary) */
/* (d1,vc1,d0,vc0)=(8,0,0,0) */
_v_add_co_u32 v41, vcc, v41, 8                     // coord1.1: coord1Vgpr += d1*sg1*VW + vc1

/* Fix for UseInitialStridesCD, emitAddressSetupCode */
s_mul_i32 s54, s[sgprStrideC1J], 8                 // scale stride
_v_add_u32 v42, v42, s54                           // ROWINC- Move cinRowPtr to next row
s_mul_i32 s54, s[sgprStrideD1J], 8                 // scale stride
_v_add_u32 v43, v43, s54                           // Move coutRowPtr to next row
v_cmp_lt_u32 s[54:55], v40, s[sgprSizeI]           // coord0 < size0
v_cmp_lt_u32 s[58:59], v41, s[sgprSizeJ]           // coord1 < size1
s_and_b64 s[58:59], s[54:55], s[58:59]             // in0 && in1
_v_add_lshl_u32 v46, v43, v40, 0x3                 // scaleToBpe: accumulate d0 lower and *= bpe into Cin addr
v_cndmask_b32 v46, -1, v46, s[58:59]               // LDD clip if OOB. offset
/* (d1,vc1,d0,vc0)=(9,0,0,0) */
_v_add_co_u32 v41, vcc, v41, 8                     // coord1.1: coord1Vgpr += d1*sg1*VW + vc1

/* Fix for UseInitialStridesCD, emitAddressSetupCode */
s_mul_i32 s54, s[sgprStrideC1J], 8                 // scale stride
_v_add_u32 v42, v42, s54                           // ROWINC- Move cinRowPtr to next row
s_mul_i32 s54, s[sgprStrideD1J], 8                 // scale stride
_v_add_u32 v43, v43, s54                           // Move coutRowPtr to next row
v_cmp_lt_u32 s[54:55], v40, s[sgprSizeI]           // coord0 < size0
v_cmp_lt_u32 s[58:59], v41, s[sgprSizeJ]           // coord1 < size1
s_and_b64 s[58:59], s[54:55], s[58:59]             // in0 && in1
_v_add_lshl_u32 v47, v43, v40, 0x3                 // scaleToBpe: accumulate d0 lower and *= bpe into Cin addr
v_cndmask_b32 v47, -1, v47, s[58:59]               // LDD clip if OOB. offset

/* rC *= alpha batchElements=[(8, 0, 0, 0), (9, 0, 0, 0)] */
v_mov_b32 v48, v[vgprValuC+16]                     // store Cr
v_mul_f32 v[vgprValuC+16], s[sgprAlpha], v[vgprValuC+16] // *= alpha ( Cr = Ar * Cr)
_v_mac_f32 v[vgprValuC+16], -s[sgprAlpha+1], v[vgprValuC+17] // *= alpha ( Cr += -Ai * Ci )
v_mul_f32 v[vgprValuC+17], s[sgprAlpha], v[vgprValuC+17] // *= alpha ( Ci = Ar * Ci)
_v_mac_f32 v[vgprValuC+17], s[sgprAlpha+1], v48    // *= alpha ( Ci += Ai * Cr_backup )
v_mov_b32 v48, v[vgprValuC+18]                     // store Cr
v_mul_f32 v[vgprValuC+18], s[sgprAlpha], v[vgprValuC+18] // *= alpha ( Cr = Ar * Cr)
_v_mac_f32 v[vgprValuC+18], -s[sgprAlpha+1], v[vgprValuC+19] // *= alpha ( Cr += -Ai * Ci )
v_mul_f32 v[vgprValuC+19], s[sgprAlpha], v[vgprValuC+19] // *= alpha ( Ci = Ar * Ci)
_v_mac_f32 v[vgprValuC+19], s[sgprAlpha+1], v48    // *= alpha ( Ci += Ai * Cr_backup )

/* apply mask, calc new C and issue writes */
_buffer_store_b64 v[16:17], v46, s[sgprSrdD:sgprSrdD+3], 0, offen, offset:0 // store D
_buffer_store_b64 v[18:19], v47, s[sgprSrdD:sgprSrdD+3], 0, offen, offset:0 // store D
s_branch label_GW_End_33                           // jump to end
GW_Beta_34:
s_and_b32 s54, 31, s[sgprSizeI]                    // s54 = s[sgprSizeI] % 32
s_add_u32 s55, -0x1, s[sgprNumWorkGroups0]         // 
s_cmp_ge_u32 s[sgprWorkGroup0], s55                // wg0 >= nwg0-1 ?
s_cselect_b32 s54, s54, 0                          // set rMT0
s_cmpk_gt_u32 s54, 0x0                             // rMT0 > 0
s_cbranch_scc1 GW_B1_E1_32                         // jump if edges required
s_mov_b32 s57, 0x0                                 // STATIC_DIV: divisior=80
s_mul_i32 s56, 0x666, s[sgprSizeJ]                 // tmp1 = dividend * magic hi
s_lshl_b64 s[56:57], s[56:57], 0x10                // left shift 16 bits
s_mul_i32 s55, s[sgprSizeJ], 0x6667                // tmp0 = dividend * magic lo
s_add_u32 s56, s55, s56                            // add lo
s_addc_u32 s57, s57, 0x0                           // add hi
s_lshr_b64 s[56:57], s[56:57], 0x21                // tmp1 = (dividend * magic) << shift
s_mov_b32 s55, s56                                 // quotient
s_mul_i32 s56, s55, 0x50                           // quotient*divisor
s_sub_u32 s54, s[sgprSizeJ], s56                   // rReg = dividend - quotient*divisor
s_add_u32 s55, -0x1, s[sgprNumWorkGroups1]         // 
s_cmp_ge_u32 s[sgprWorkGroup1], s55                // wg1 >= nwg1-1
s_cselect_b32 s54, s54, 0                          // set rMT1
s_cmpk_gt_u32 s54, 0x0                             // rMT1 > 0
s_cbranch_scc1 GW_B1_E1_32                         // jump if edges required
GW_B1_E0_29:

/* edge=0, allocate 2 sgpr. perBatchTmpS=2 perBatchMaskS=0 perElementMaskS=0 elementsPerBatch=4 */
/* optSingleColVgpr=1 optSharedColVgpr=0 optSGPRUsage=BufferLoad_Mask optSrdIncForRow=1 */

/******************************************/
/* Global Write Alpha Beta Batch #0 (d1,d0,vc1,vc0) = */
/*    (0,0,0,0:vw1); (1,0,0,0:vw1); (2,0,0,0:vw1); (3,0,0,0:vw1) */
/******************************************/

/* calc coords, apply mask, and issue loads (if necessary) */
/* (d1,vc1,d0,vc0)=(0,0,0,0) */
_v_add_lshl_u32 v47, v42, v40, 0x3                 // optSingleColVgpr scaleToBpe: sharedAddrVgpr <- cinRowPtr + coord0, scaled by BPE. BSHERE:coord0=40, coord0Vgpr=40
_buffer_load_b64 v[48:49], v47, s[sgprSrdC:sgprSrdC+3], 0, offen offset:0 // load C for beta calc
/* (d1,vc1,d0,vc0)=(1,0,0,0) */
s_mul_i32 s34, s[sgprStrideC1J], 64                // scale StrideC *= numRows(8) * bpe
s_add_u32  s[sgprSrdC+0], s[sgprSrdC+0], s34       // incToNextRow: gra SRD += inc(lower)
s_addc_u32  s[sgprSrdC+1], s[sgprSrdC+1], 0        // incToNextRow: gra SRD += inc(upper)
_buffer_load_b64 v[50:51], v47, s[sgprSrdC:sgprSrdC+3], 0, offen offset:0 // load C for beta calc
/* (d1,vc1,d0,vc0)=(2,0,0,0) */
s_mul_i32 s34, s[sgprStrideC1J], 64                // scale StrideC *= numRows(8) * bpe
s_add_u32  s[sgprSrdC+0], s[sgprSrdC+0], s34       // incToNextRow: gra SRD += inc(lower)
s_addc_u32  s[sgprSrdC+1], s[sgprSrdC+1], 0        // incToNextRow: gra SRD += inc(upper)
	;; [unrolled: 5-line block ×3, first 2 shown]
_buffer_load_b64 v[54:55], v47, s[sgprSrdC:sgprSrdC+3], 0, offen offset:0 // load C for beta calc
_v_add_lshl_u32 v46, v43, v40, 0x3                 // optSingleColVgpr scaleToBpe: sharedAddrVgpr <- cinRowPtr + coord0, scaled by BPE. BSHERE:coord0=40, coord0Vgpr=40

/* rC *= alpha batchElements=[(0, 0, 0, 0), (1, 0, 0, 0), (2, 0, 0, 0), (3, 0, 0, 0)] */
v_mov_b32 v56, v[vgprValuC+0]                      // store Cr
v_mul_f32 v[vgprValuC+0], s[sgprAlpha], v[vgprValuC+0] // *= alpha ( Cr = Ar * Cr)
_v_mac_f32 v[vgprValuC+0], -s[sgprAlpha+1], v[vgprValuC+1] // *= alpha ( Cr += -Ai * Ci )
v_mul_f32 v[vgprValuC+1], s[sgprAlpha], v[vgprValuC+1] // *= alpha ( Ci = Ar * Ci)
_v_mac_f32 v[vgprValuC+1], s[sgprAlpha+1], v56     // *= alpha ( Ci += Ai * Cr_backup )
v_mov_b32 v56, v[vgprValuC+2]                      // store Cr
v_mul_f32 v[vgprValuC+2], s[sgprAlpha], v[vgprValuC+2] // *= alpha ( Cr = Ar * Cr)
_v_mac_f32 v[vgprValuC+2], -s[sgprAlpha+1], v[vgprValuC+3] // *= alpha ( Cr += -Ai * Ci )
v_mul_f32 v[vgprValuC+3], s[sgprAlpha], v[vgprValuC+3] // *= alpha ( Ci = Ar * Ci)
_v_mac_f32 v[vgprValuC+3], s[sgprAlpha+1], v56     // *= alpha ( Ci += Ai * Cr_backup )
	;; [unrolled: 5-line block ×4, first 2 shown]

/* apply mask, calc new C and issue writes */

s_waitcnt vmcnt(3)                                 // wait C (interleaved) 3 = 4 - 0 + 0 - 1
_v_mac_f32 v[vgprValuC+0], v48, s[sgprBeta]        // finalSum Cr += old Cr * Br
_v_mac_f32 v[vgprValuC+0], v49, -s[sgprBeta+1]     // finalSum Cr += old Ci * -Bi
_v_mac_f32 v[vgprValuC+1], v49, s[sgprBeta]        // finalSum Ci += old Ci * Br
_v_mac_f32 v[vgprValuC+1], v48, s[sgprBeta+1]      // finalSum Ci += old Cr * Bi
_buffer_store_b64 v[0:1], v46, s[sgprSrdD:sgprSrdD+3], 0, offen, offset:0 // store D

s_waitcnt vmcnt(3)                                 // wait C (interleaved) 3 = 4 - 1 + 1 - 1
_v_mac_f32 v[vgprValuC+2], v50, s[sgprBeta]        // finalSum Cr += old Cr * Br
_v_mac_f32 v[vgprValuC+2], v51, -s[sgprBeta+1]     // finalSum Cr += old Ci * -Bi
_v_mac_f32 v[vgprValuC+3], v51, s[sgprBeta]        // finalSum Ci += old Ci * Br
_v_mac_f32 v[vgprValuC+3], v50, s[sgprBeta+1]      // finalSum Ci += old Cr * Bi
s_mul_i32 s34, s[sgprStrideD1J], 64                // scale StrideD *= numRows(8) * bpe
s_add_u32  s[sgprSrdD+0], s[sgprSrdD+0], s34       // incToNextRow: gra SRD += inc(lower)
s_addc_u32  s[sgprSrdD+1], s[sgprSrdD+1], 0        // incToNextRow: gra SRD += inc(upper)
_buffer_store_b64 v[2:3], v46, s[sgprSrdD:sgprSrdD+3], 0, offen, offset:0 // store D

s_waitcnt vmcnt(3)                                 // wait C (interleaved) 3 = 4 - 2 + 2 - 1
_v_mac_f32 v[vgprValuC+4], v52, s[sgprBeta]        // finalSum Cr += old Cr * Br
_v_mac_f32 v[vgprValuC+4], v53, -s[sgprBeta+1]     // finalSum Cr += old Ci * -Bi
_v_mac_f32 v[vgprValuC+5], v53, s[sgprBeta]        // finalSum Ci += old Ci * Br
_v_mac_f32 v[vgprValuC+5], v52, s[sgprBeta+1]      // finalSum Ci += old Cr * Bi
s_mul_i32 s34, s[sgprStrideD1J], 64                // scale StrideD *= numRows(8) * bpe
s_add_u32  s[sgprSrdD+0], s[sgprSrdD+0], s34       // incToNextRow: gra SRD += inc(lower)
s_addc_u32  s[sgprSrdD+1], s[sgprSrdD+1], 0        // incToNextRow: gra SRD += inc(upper)
_buffer_store_b64 v[4:5], v46, s[sgprSrdD:sgprSrdD+3], 0, offen, offset:0 // store D

s_waitcnt vmcnt(3)                                 // wait C (interleaved) 3 = 4 - 3 + 3 - 1
_v_mac_f32 v[vgprValuC+6], v54, s[sgprBeta]        // finalSum Cr += old Cr * Br
_v_mac_f32 v[vgprValuC+6], v55, -s[sgprBeta+1]     // finalSum Cr += old Ci * -Bi
_v_mac_f32 v[vgprValuC+7], v55, s[sgprBeta]        // finalSum Ci += old Ci * Br
_v_mac_f32 v[vgprValuC+7], v54, s[sgprBeta+1]      // finalSum Ci += old Cr * Bi
s_mul_i32 s34, s[sgprStrideD1J], 64                // scale StrideD *= numRows(8) * bpe
s_add_u32  s[sgprSrdD+0], s[sgprSrdD+0], s34       // incToNextRow: gra SRD += inc(lower)
s_addc_u32  s[sgprSrdD+1], s[sgprSrdD+1], 0        // incToNextRow: gra SRD += inc(upper)
_buffer_store_b64 v[6:7], v46, s[sgprSrdD:sgprSrdD+3], 0, offen, offset:0 // store D
/* optSingleColVgpr=1 optSharedColVgpr=0 optSGPRUsage=BufferLoad_Mask optSrdIncForRow=1 */

/******************************************/
/* Global Write Alpha Beta Batch #1 (d1,d0,vc1,vc0) = */
/*    (4,0,0,0:vw1); (5,0,0,0:vw1); (6,0,0,0:vw1); (7,0,0,0:vw1) */
/******************************************/

/* calc coords, apply mask, and issue loads (if necessary) */
/* (d1,vc1,d0,vc0)=(4,0,0,0) */
s_mul_i32 s34, s[sgprStrideC1J], 64                // scale StrideC *= numRows(8) * bpe
s_add_u32  s[sgprSrdC+0], s[sgprSrdC+0], s34       // incToNextRow: gra SRD += inc(lower)
s_addc_u32  s[sgprSrdC+1], s[sgprSrdC+1], 0        // incToNextRow: gra SRD += inc(upper)
_buffer_load_b64 v[48:49], v47, s[sgprSrdC:sgprSrdC+3], 0, offen offset:0 // load C for beta calc
/* (d1,vc1,d0,vc0)=(5,0,0,0) */
s_mul_i32 s34, s[sgprStrideC1J], 64                // scale StrideC *= numRows(8) * bpe
s_add_u32  s[sgprSrdC+0], s[sgprSrdC+0], s34       // incToNextRow: gra SRD += inc(lower)
s_addc_u32  s[sgprSrdC+1], s[sgprSrdC+1], 0        // incToNextRow: gra SRD += inc(upper)
_buffer_load_b64 v[50:51], v47, s[sgprSrdC:sgprSrdC+3], 0, offen offset:0 // load C for beta calc
	;; [unrolled: 5-line block ×4, first 2 shown]

/* rC *= alpha batchElements=[(4, 0, 0, 0), (5, 0, 0, 0), (6, 0, 0, 0), (7, 0, 0, 0)] */
v_mov_b32 v56, v[vgprValuC+8]                      // store Cr
v_mul_f32 v[vgprValuC+8], s[sgprAlpha], v[vgprValuC+8] // *= alpha ( Cr = Ar * Cr)
_v_mac_f32 v[vgprValuC+8], -s[sgprAlpha+1], v[vgprValuC+9] // *= alpha ( Cr += -Ai * Ci )
v_mul_f32 v[vgprValuC+9], s[sgprAlpha], v[vgprValuC+9] // *= alpha ( Ci = Ar * Ci)
_v_mac_f32 v[vgprValuC+9], s[sgprAlpha+1], v56     // *= alpha ( Ci += Ai * Cr_backup )
v_mov_b32 v56, v[vgprValuC+10]                     // store Cr
v_mul_f32 v[vgprValuC+10], s[sgprAlpha], v[vgprValuC+10] // *= alpha ( Cr = Ar * Cr)
_v_mac_f32 v[vgprValuC+10], -s[sgprAlpha+1], v[vgprValuC+11] // *= alpha ( Cr += -Ai * Ci )
v_mul_f32 v[vgprValuC+11], s[sgprAlpha], v[vgprValuC+11] // *= alpha ( Ci = Ar * Ci)
_v_mac_f32 v[vgprValuC+11], s[sgprAlpha+1], v56    // *= alpha ( Ci += Ai * Cr_backup )
v_mov_b32 v56, v[vgprValuC+12]                     // store Cr
v_mul_f32 v[vgprValuC+12], s[sgprAlpha], v[vgprValuC+12] // *= alpha ( Cr = Ar * Cr)
_v_mac_f32 v[vgprValuC+12], -s[sgprAlpha+1], v[vgprValuC+13] // *= alpha ( Cr += -Ai * Ci )
v_mul_f32 v[vgprValuC+13], s[sgprAlpha], v[vgprValuC+13] // *= alpha ( Ci = Ar * Ci)
_v_mac_f32 v[vgprValuC+13], s[sgprAlpha+1], v56    // *= alpha ( Ci += Ai * Cr_backup )
	;; [unrolled: 5-line block ×3, first 2 shown]

/* apply mask, calc new C and issue writes */

s_waitcnt vmcnt(3)                                 // wait C (interleaved) 3 = 4 - 0 + 0 - 1
_v_mac_f32 v[vgprValuC+8], v48, s[sgprBeta]        // finalSum Cr += old Cr * Br
_v_mac_f32 v[vgprValuC+8], v49, -s[sgprBeta+1]     // finalSum Cr += old Ci * -Bi
_v_mac_f32 v[vgprValuC+9], v49, s[sgprBeta]        // finalSum Ci += old Ci * Br
_v_mac_f32 v[vgprValuC+9], v48, s[sgprBeta+1]      // finalSum Ci += old Cr * Bi
s_mul_i32 s34, s[sgprStrideD1J], 64                // scale StrideD *= numRows(8) * bpe
s_add_u32  s[sgprSrdD+0], s[sgprSrdD+0], s34       // incToNextRow: gra SRD += inc(lower)
s_addc_u32  s[sgprSrdD+1], s[sgprSrdD+1], 0        // incToNextRow: gra SRD += inc(upper)
_buffer_store_b64 v[8:9], v46, s[sgprSrdD:sgprSrdD+3], 0, offen, offset:0 // store D

s_waitcnt vmcnt(3)                                 // wait C (interleaved) 3 = 4 - 1 + 1 - 1
_v_mac_f32 v[vgprValuC+10], v50, s[sgprBeta]       // finalSum Cr += old Cr * Br
_v_mac_f32 v[vgprValuC+10], v51, -s[sgprBeta+1]    // finalSum Cr += old Ci * -Bi
_v_mac_f32 v[vgprValuC+11], v51, s[sgprBeta]       // finalSum Ci += old Ci * Br
_v_mac_f32 v[vgprValuC+11], v50, s[sgprBeta+1]     // finalSum Ci += old Cr * Bi
s_mul_i32 s34, s[sgprStrideD1J], 64                // scale StrideD *= numRows(8) * bpe
s_add_u32  s[sgprSrdD+0], s[sgprSrdD+0], s34       // incToNextRow: gra SRD += inc(lower)
s_addc_u32  s[sgprSrdD+1], s[sgprSrdD+1], 0        // incToNextRow: gra SRD += inc(upper)
_buffer_store_b64 v[10:11], v46, s[sgprSrdD:sgprSrdD+3], 0, offen, offset:0 // store D

s_waitcnt vmcnt(3)                                 // wait C (interleaved) 3 = 4 - 2 + 2 - 1
_v_mac_f32 v[vgprValuC+12], v52, s[sgprBeta]       // finalSum Cr += old Cr * Br
_v_mac_f32 v[vgprValuC+12], v53, -s[sgprBeta+1]    // finalSum Cr += old Ci * -Bi
_v_mac_f32 v[vgprValuC+13], v53, s[sgprBeta]       // finalSum Ci += old Ci * Br
_v_mac_f32 v[vgprValuC+13], v52, s[sgprBeta+1]     // finalSum Ci += old Cr * Bi
s_mul_i32 s34, s[sgprStrideD1J], 64                // scale StrideD *= numRows(8) * bpe
s_add_u32  s[sgprSrdD+0], s[sgprSrdD+0], s34       // incToNextRow: gra SRD += inc(lower)
s_addc_u32  s[sgprSrdD+1], s[sgprSrdD+1], 0        // incToNextRow: gra SRD += inc(upper)
_buffer_store_b64 v[12:13], v46, s[sgprSrdD:sgprSrdD+3], 0, offen, offset:0 // store D

s_waitcnt vmcnt(3)                                 // wait C (interleaved) 3 = 4 - 3 + 3 - 1
_v_mac_f32 v[vgprValuC+14], v54, s[sgprBeta]       // finalSum Cr += old Cr * Br
_v_mac_f32 v[vgprValuC+14], v55, -s[sgprBeta+1]    // finalSum Cr += old Ci * -Bi
_v_mac_f32 v[vgprValuC+15], v55, s[sgprBeta]       // finalSum Ci += old Ci * Br
_v_mac_f32 v[vgprValuC+15], v54, s[sgprBeta+1]     // finalSum Ci += old Cr * Bi
s_mul_i32 s34, s[sgprStrideD1J], 64                // scale StrideD *= numRows(8) * bpe
s_add_u32  s[sgprSrdD+0], s[sgprSrdD+0], s34       // incToNextRow: gra SRD += inc(lower)
s_addc_u32  s[sgprSrdD+1], s[sgprSrdD+1], 0        // incToNextRow: gra SRD += inc(upper)
_buffer_store_b64 v[14:15], v46, s[sgprSrdD:sgprSrdD+3], 0, offen, offset:0 // store D
/* optSingleColVgpr=1 optSharedColVgpr=0 optSGPRUsage=BufferLoad_Mask optSrdIncForRow=1 */

/******************************************/
/* Global Write Alpha Beta Batch #2 (d1,d0,vc1,vc0) = */
/*    (8,0,0,0:vw1); (9,0,0,0:vw1)        */
/******************************************/

/* calc coords, apply mask, and issue loads (if necessary) */
/* (d1,vc1,d0,vc0)=(8,0,0,0) */
s_mul_i32 s34, s[sgprStrideC1J], 64                // scale StrideC *= numRows(8) * bpe
s_add_u32  s[sgprSrdC+0], s[sgprSrdC+0], s34       // incToNextRow: gra SRD += inc(lower)
s_addc_u32  s[sgprSrdC+1], s[sgprSrdC+1], 0        // incToNextRow: gra SRD += inc(upper)
_buffer_load_b64 v[48:49], v47, s[sgprSrdC:sgprSrdC+3], 0, offen offset:0 // load C for beta calc
/* (d1,vc1,d0,vc0)=(9,0,0,0) */
s_mul_i32 s34, s[sgprStrideC1J], 64                // scale StrideC *= numRows(8) * bpe
s_add_u32  s[sgprSrdC+0], s[sgprSrdC+0], s34       // incToNextRow: gra SRD += inc(lower)
s_addc_u32  s[sgprSrdC+1], s[sgprSrdC+1], 0        // incToNextRow: gra SRD += inc(upper)
_buffer_load_b64 v[50:51], v47, s[sgprSrdC:sgprSrdC+3], 0, offen offset:0 // load C for beta calc

/* rC *= alpha batchElements=[(8, 0, 0, 0), (9, 0, 0, 0)] */
v_mov_b32 v52, v[vgprValuC+16]                     // store Cr
v_mul_f32 v[vgprValuC+16], s[sgprAlpha], v[vgprValuC+16] // *= alpha ( Cr = Ar * Cr)
_v_mac_f32 v[vgprValuC+16], -s[sgprAlpha+1], v[vgprValuC+17] // *= alpha ( Cr += -Ai * Ci )
v_mul_f32 v[vgprValuC+17], s[sgprAlpha], v[vgprValuC+17] // *= alpha ( Ci = Ar * Ci)
_v_mac_f32 v[vgprValuC+17], s[sgprAlpha+1], v52    // *= alpha ( Ci += Ai * Cr_backup )
v_mov_b32 v52, v[vgprValuC+18]                     // store Cr
v_mul_f32 v[vgprValuC+18], s[sgprAlpha], v[vgprValuC+18] // *= alpha ( Cr = Ar * Cr)
_v_mac_f32 v[vgprValuC+18], -s[sgprAlpha+1], v[vgprValuC+19] // *= alpha ( Cr += -Ai * Ci )
v_mul_f32 v[vgprValuC+19], s[sgprAlpha], v[vgprValuC+19] // *= alpha ( Ci = Ar * Ci)
_v_mac_f32 v[vgprValuC+19], s[sgprAlpha+1], v52    // *= alpha ( Ci += Ai * Cr_backup )

/* apply mask, calc new C and issue writes */

s_waitcnt vmcnt(1)                                 // wait C (interleaved) 1 = 2 - 0 + 0 - 1
_v_mac_f32 v[vgprValuC+16], v48, s[sgprBeta]       // finalSum Cr += old Cr * Br
_v_mac_f32 v[vgprValuC+16], v49, -s[sgprBeta+1]    // finalSum Cr += old Ci * -Bi
_v_mac_f32 v[vgprValuC+17], v49, s[sgprBeta]       // finalSum Ci += old Ci * Br
_v_mac_f32 v[vgprValuC+17], v48, s[sgprBeta+1]     // finalSum Ci += old Cr * Bi
s_mul_i32 s34, s[sgprStrideD1J], 64                // scale StrideD *= numRows(8) * bpe
s_add_u32  s[sgprSrdD+0], s[sgprSrdD+0], s34       // incToNextRow: gra SRD += inc(lower)
s_addc_u32  s[sgprSrdD+1], s[sgprSrdD+1], 0        // incToNextRow: gra SRD += inc(upper)
_buffer_store_b64 v[16:17], v46, s[sgprSrdD:sgprSrdD+3], 0, offen, offset:0 // store D

s_waitcnt vmcnt(1)                                 // wait C (interleaved) 1 = 2 - 1 + 1 - 1
_v_mac_f32 v[vgprValuC+18], v50, s[sgprBeta]       // finalSum Cr += old Cr * Br
_v_mac_f32 v[vgprValuC+18], v51, -s[sgprBeta+1]    // finalSum Cr += old Ci * -Bi
_v_mac_f32 v[vgprValuC+19], v51, s[sgprBeta]       // finalSum Ci += old Ci * Br
_v_mac_f32 v[vgprValuC+19], v50, s[sgprBeta+1]     // finalSum Ci += old Cr * Bi
s_mul_i32 s34, s[sgprStrideD1J], 64                // scale StrideD *= numRows(8) * bpe
s_add_u32  s[sgprSrdD+0], s[sgprSrdD+0], s34       // incToNextRow: gra SRD += inc(lower)
s_addc_u32  s[sgprSrdD+1], s[sgprSrdD+1], 0        // incToNextRow: gra SRD += inc(upper)
_buffer_store_b64 v[18:19], v46, s[sgprSrdD:sgprSrdD+3], 0, offen, offset:0 // store D
s_branch label_GW_End_33                           // jump to end
GW_B1_E1_32:

/* edge=1, allocate 6 sgpr. perBatchTmpS=4 perBatchMaskS=2 perElementMaskS=0 elementsPerBatch=4 */
/* optSingleColVgpr=0 optSharedColVgpr=0 optSGPRUsage=BufferLoad_Edge_Mask optSrdIncForRow=0 */

/******************************************/
/* Global Write Alpha Beta Edge Batch #0 (d1,d0,vc1,vc0) = */
/*    (0,0,0,0:vw1); (1,0,0,0:vw1); (2,0,0,0:vw1); (3,0,0,0:vw1) */
/******************************************/

/* calc coords, apply mask, and issue loads (if necessary) */
/* (d1,vc1,d0,vc0)=(0,0,0,0) */
v_cmp_lt_u32 s[54:55], v40, s[sgprSizeI]           // coord0 < size0
v_cmp_lt_u32 s[58:59], v41, s[sgprSizeJ]           // coord1 < size1
s_and_b64 s[58:59], s[54:55], s[58:59]             // in0 && in1
_v_add_lshl_u32 v46, v42, v40, 0x3                 // scaleToBpe: accumulate d0 lower and *= bpe into Cin addr
v_cndmask_b32 v46, -1, v46, s[58:59]               // LDC clip if OOB. offset
_buffer_load_b64 v[48:49], v46, s[sgprSrdC:sgprSrdC+3], 0, offen offset:0 // load C for beta calc
_v_add_lshl_u32 v46, v43, v40, 0x3                 // scaleToBpe: accumulate d0 lower and *= bpe into Cin addr
v_cndmask_b32 v46, -1, v46, s[58:59]               // LDD clip if OOB. offset
/* (d1,vc1,d0,vc0)=(1,0,0,0) */
_v_add_co_u32 v41, vcc, v41, 8                     // coord1.1: coord1Vgpr += d1*sg1*VW + vc1

/* Fix for UseInitialStridesCD, emitAddressSetupCode */
s_mul_i32 s54, s[sgprStrideC1J], 8                 // scale stride
_v_add_u32 v42, v42, s54                           // ROWINC- Move cinRowPtr to next row
s_mul_i32 s54, s[sgprStrideD1J], 8                 // scale stride
_v_add_u32 v43, v43, s54                           // Move coutRowPtr to next row
v_cmp_lt_u32 s[54:55], v40, s[sgprSizeI]           // coord0 < size0
v_cmp_lt_u32 s[58:59], v41, s[sgprSizeJ]           // coord1 < size1
s_and_b64 s[58:59], s[54:55], s[58:59]             // in0 && in1
_v_add_lshl_u32 v47, v42, v40, 0x3                 // scaleToBpe: accumulate d0 lower and *= bpe into Cin addr
v_cndmask_b32 v47, -1, v47, s[58:59]               // LDC clip if OOB. offset
_buffer_load_b64 v[50:51], v47, s[sgprSrdC:sgprSrdC+3], 0, offen offset:0 // load C for beta calc
_v_add_lshl_u32 v47, v43, v40, 0x3                 // scaleToBpe: accumulate d0 lower and *= bpe into Cin addr
v_cndmask_b32 v47, -1, v47, s[58:59]               // LDD clip if OOB. offset
/* (d1,vc1,d0,vc0)=(2,0,0,0) */
_v_add_co_u32 v41, vcc, v41, 8                     // coord1.1: coord1Vgpr += d1*sg1*VW + vc1

/* Fix for UseInitialStridesCD, emitAddressSetupCode */
s_mul_i32 s54, s[sgprStrideC1J], 8                 // scale stride
_v_add_u32 v42, v42, s54                           // ROWINC- Move cinRowPtr to next row
s_mul_i32 s54, s[sgprStrideD1J], 8                 // scale stride
_v_add_u32 v43, v43, s54                           // Move coutRowPtr to next row
v_cmp_lt_u32 s[54:55], v40, s[sgprSizeI]           // coord0 < size0
v_cmp_lt_u32 s[58:59], v41, s[sgprSizeJ]           // coord1 < size1
s_and_b64 s[58:59], s[54:55], s[58:59]             // in0 && in1
_v_add_lshl_u32 v52, v42, v40, 0x3                 // scaleToBpe: accumulate d0 lower and *= bpe into Cin addr
v_cndmask_b32 v52, -1, v52, s[58:59]               // LDC clip if OOB. offset
_buffer_load_b64 v[54:55], v52, s[sgprSrdC:sgprSrdC+3], 0, offen offset:0 // load C for beta calc
_v_add_lshl_u32 v52, v43, v40, 0x3                 // scaleToBpe: accumulate d0 lower and *= bpe into Cin addr
v_cndmask_b32 v52, -1, v52, s[58:59]               // LDD clip if OOB. offset
/* (d1,vc1,d0,vc0)=(3,0,0,0) */
_v_add_co_u32 v41, vcc, v41, 8                     // coord1.1: coord1Vgpr += d1*sg1*VW + vc1

/* Fix for UseInitialStridesCD, emitAddressSetupCode */
s_mul_i32 s54, s[sgprStrideC1J], 8                 // scale stride
_v_add_u32 v42, v42, s54                           // ROWINC- Move cinRowPtr to next row
s_mul_i32 s54, s[sgprStrideD1J], 8                 // scale stride
_v_add_u32 v43, v43, s54                           // Move coutRowPtr to next row
v_cmp_lt_u32 s[54:55], v40, s[sgprSizeI]           // coord0 < size0
v_cmp_lt_u32 s[58:59], v41, s[sgprSizeJ]           // coord1 < size1
s_and_b64 s[58:59], s[54:55], s[58:59]             // in0 && in1
_v_add_lshl_u32 v53, v42, v40, 0x3                 // scaleToBpe: accumulate d0 lower and *= bpe into Cin addr
v_cndmask_b32 v53, -1, v53, s[58:59]               // LDC clip if OOB. offset
_buffer_load_b64 v[56:57], v53, s[sgprSrdC:sgprSrdC+3], 0, offen offset:0 // load C for beta calc
_v_add_lshl_u32 v53, v43, v40, 0x3                 // scaleToBpe: accumulate d0 lower and *= bpe into Cin addr
v_cndmask_b32 v53, -1, v53, s[58:59]               // LDD clip if OOB. offset

/* rC *= alpha batchElements=[(0, 0, 0, 0), (1, 0, 0, 0), (2, 0, 0, 0), (3, 0, 0, 0)] */
v_mov_b32 v58, v[vgprValuC+0]                      // store Cr
v_mul_f32 v[vgprValuC+0], s[sgprAlpha], v[vgprValuC+0] // *= alpha ( Cr = Ar * Cr)
_v_mac_f32 v[vgprValuC+0], -s[sgprAlpha+1], v[vgprValuC+1] // *= alpha ( Cr += -Ai * Ci )
v_mul_f32 v[vgprValuC+1], s[sgprAlpha], v[vgprValuC+1] // *= alpha ( Ci = Ar * Ci)
_v_mac_f32 v[vgprValuC+1], s[sgprAlpha+1], v58     // *= alpha ( Ci += Ai * Cr_backup )
v_mov_b32 v58, v[vgprValuC+2]                      // store Cr
v_mul_f32 v[vgprValuC+2], s[sgprAlpha], v[vgprValuC+2] // *= alpha ( Cr = Ar * Cr)
_v_mac_f32 v[vgprValuC+2], -s[sgprAlpha+1], v[vgprValuC+3] // *= alpha ( Cr += -Ai * Ci )
v_mul_f32 v[vgprValuC+3], s[sgprAlpha], v[vgprValuC+3] // *= alpha ( Ci = Ar * Ci)
_v_mac_f32 v[vgprValuC+3], s[sgprAlpha+1], v58     // *= alpha ( Ci += Ai * Cr_backup )
	;; [unrolled: 5-line block ×4, first 2 shown]
s_waitcnt vmcnt(0)                                 // wait C

/* apply mask, calc new C and issue writes */
_v_mac_f32 v[vgprValuC+0], v48, s[sgprBeta]        // finalSum Cr += old Cr * Br
_v_mac_f32 v[vgprValuC+0], v49, -s[sgprBeta+1]     // finalSum Cr += old Ci * -Bi
_v_mac_f32 v[vgprValuC+1], v49, s[sgprBeta]        // finalSum Ci += old Ci * Br
_v_mac_f32 v[vgprValuC+1], v48, s[sgprBeta+1]      // finalSum Ci += old Cr * Bi
_buffer_store_b64 v[0:1], v46, s[sgprSrdD:sgprSrdD+3], 0, offen, offset:0 // store D
_v_mac_f32 v[vgprValuC+2], v50, s[sgprBeta]        // finalSum Cr += old Cr * Br
_v_mac_f32 v[vgprValuC+2], v51, -s[sgprBeta+1]     // finalSum Cr += old Ci * -Bi
_v_mac_f32 v[vgprValuC+3], v51, s[sgprBeta]        // finalSum Ci += old Ci * Br
_v_mac_f32 v[vgprValuC+3], v50, s[sgprBeta+1]      // finalSum Ci += old Cr * Bi
_buffer_store_b64 v[2:3], v47, s[sgprSrdD:sgprSrdD+3], 0, offen, offset:0 // store D
	;; [unrolled: 5-line block ×4, first 2 shown]
/* optSingleColVgpr=0 optSharedColVgpr=0 optSGPRUsage=BufferLoad_Edge_Mask optSrdIncForRow=0 */

/******************************************/
/* Global Write Alpha Beta Edge Batch #1 (d1,d0,vc1,vc0) = */
/*    (4,0,0,0:vw1); (5,0,0,0:vw1); (6,0,0,0:vw1); (7,0,0,0:vw1) */
/******************************************/

/* calc coords, apply mask, and issue loads (if necessary) */
/* (d1,vc1,d0,vc0)=(4,0,0,0) */
_v_add_co_u32 v41, vcc, v41, 8                     // coord1.1: coord1Vgpr += d1*sg1*VW + vc1

/* Fix for UseInitialStridesCD, emitAddressSetupCode */
s_mul_i32 s54, s[sgprStrideC1J], 8                 // scale stride
_v_add_u32 v42, v42, s54                           // ROWINC- Move cinRowPtr to next row
s_mul_i32 s54, s[sgprStrideD1J], 8                 // scale stride
_v_add_u32 v43, v43, s54                           // Move coutRowPtr to next row
v_cmp_lt_u32 s[54:55], v40, s[sgprSizeI]           // coord0 < size0
v_cmp_lt_u32 s[58:59], v41, s[sgprSizeJ]           // coord1 < size1
s_and_b64 s[58:59], s[54:55], s[58:59]             // in0 && in1
_v_add_lshl_u32 v46, v42, v40, 0x3                 // scaleToBpe: accumulate d0 lower and *= bpe into Cin addr
v_cndmask_b32 v46, -1, v46, s[58:59]               // LDC clip if OOB. offset
_buffer_load_b64 v[48:49], v46, s[sgprSrdC:sgprSrdC+3], 0, offen offset:0 // load C for beta calc
_v_add_lshl_u32 v46, v43, v40, 0x3                 // scaleToBpe: accumulate d0 lower and *= bpe into Cin addr
v_cndmask_b32 v46, -1, v46, s[58:59]               // LDD clip if OOB. offset
/* (d1,vc1,d0,vc0)=(5,0,0,0) */
_v_add_co_u32 v41, vcc, v41, 8                     // coord1.1: coord1Vgpr += d1*sg1*VW + vc1

/* Fix for UseInitialStridesCD, emitAddressSetupCode */
s_mul_i32 s54, s[sgprStrideC1J], 8                 // scale stride
_v_add_u32 v42, v42, s54                           // ROWINC- Move cinRowPtr to next row
s_mul_i32 s54, s[sgprStrideD1J], 8                 // scale stride
_v_add_u32 v43, v43, s54                           // Move coutRowPtr to next row
v_cmp_lt_u32 s[54:55], v40, s[sgprSizeI]           // coord0 < size0
v_cmp_lt_u32 s[58:59], v41, s[sgprSizeJ]           // coord1 < size1
s_and_b64 s[58:59], s[54:55], s[58:59]             // in0 && in1
_v_add_lshl_u32 v47, v42, v40, 0x3                 // scaleToBpe: accumulate d0 lower and *= bpe into Cin addr
v_cndmask_b32 v47, -1, v47, s[58:59]               // LDC clip if OOB. offset
_buffer_load_b64 v[50:51], v47, s[sgprSrdC:sgprSrdC+3], 0, offen offset:0 // load C for beta calc
_v_add_lshl_u32 v47, v43, v40, 0x3                 // scaleToBpe: accumulate d0 lower and *= bpe into Cin addr
v_cndmask_b32 v47, -1, v47, s[58:59]               // LDD clip if OOB. offset
	;; [unrolled: 16-line block ×4, first 2 shown]

/* rC *= alpha batchElements=[(4, 0, 0, 0), (5, 0, 0, 0), (6, 0, 0, 0), (7, 0, 0, 0)] */
v_mov_b32 v58, v[vgprValuC+8]                      // store Cr
v_mul_f32 v[vgprValuC+8], s[sgprAlpha], v[vgprValuC+8] // *= alpha ( Cr = Ar * Cr)
_v_mac_f32 v[vgprValuC+8], -s[sgprAlpha+1], v[vgprValuC+9] // *= alpha ( Cr += -Ai * Ci )
v_mul_f32 v[vgprValuC+9], s[sgprAlpha], v[vgprValuC+9] // *= alpha ( Ci = Ar * Ci)
_v_mac_f32 v[vgprValuC+9], s[sgprAlpha+1], v58     // *= alpha ( Ci += Ai * Cr_backup )
v_mov_b32 v58, v[vgprValuC+10]                     // store Cr
v_mul_f32 v[vgprValuC+10], s[sgprAlpha], v[vgprValuC+10] // *= alpha ( Cr = Ar * Cr)
_v_mac_f32 v[vgprValuC+10], -s[sgprAlpha+1], v[vgprValuC+11] // *= alpha ( Cr += -Ai * Ci )
v_mul_f32 v[vgprValuC+11], s[sgprAlpha], v[vgprValuC+11] // *= alpha ( Ci = Ar * Ci)
_v_mac_f32 v[vgprValuC+11], s[sgprAlpha+1], v58    // *= alpha ( Ci += Ai * Cr_backup )
v_mov_b32 v58, v[vgprValuC+12]                     // store Cr
v_mul_f32 v[vgprValuC+12], s[sgprAlpha], v[vgprValuC+12] // *= alpha ( Cr = Ar * Cr)
_v_mac_f32 v[vgprValuC+12], -s[sgprAlpha+1], v[vgprValuC+13] // *= alpha ( Cr += -Ai * Ci )
v_mul_f32 v[vgprValuC+13], s[sgprAlpha], v[vgprValuC+13] // *= alpha ( Ci = Ar * Ci)
_v_mac_f32 v[vgprValuC+13], s[sgprAlpha+1], v58    // *= alpha ( Ci += Ai * Cr_backup )
	;; [unrolled: 5-line block ×3, first 2 shown]
s_waitcnt vmcnt(0)                                 // wait C

/* apply mask, calc new C and issue writes */
_v_mac_f32 v[vgprValuC+8], v48, s[sgprBeta]        // finalSum Cr += old Cr * Br
_v_mac_f32 v[vgprValuC+8], v49, -s[sgprBeta+1]     // finalSum Cr += old Ci * -Bi
_v_mac_f32 v[vgprValuC+9], v49, s[sgprBeta]        // finalSum Ci += old Ci * Br
_v_mac_f32 v[vgprValuC+9], v48, s[sgprBeta+1]      // finalSum Ci += old Cr * Bi
_buffer_store_b64 v[8:9], v46, s[sgprSrdD:sgprSrdD+3], 0, offen, offset:0 // store D
_v_mac_f32 v[vgprValuC+10], v50, s[sgprBeta]       // finalSum Cr += old Cr * Br
_v_mac_f32 v[vgprValuC+10], v51, -s[sgprBeta+1]    // finalSum Cr += old Ci * -Bi
_v_mac_f32 v[vgprValuC+11], v51, s[sgprBeta]       // finalSum Ci += old Ci * Br
_v_mac_f32 v[vgprValuC+11], v50, s[sgprBeta+1]     // finalSum Ci += old Cr * Bi
_buffer_store_b64 v[10:11], v47, s[sgprSrdD:sgprSrdD+3], 0, offen, offset:0 // store D
_v_mac_f32 v[vgprValuC+12], v54, s[sgprBeta]       // finalSum Cr += old Cr * Br
_v_mac_f32 v[vgprValuC+12], v55, -s[sgprBeta+1]    // finalSum Cr += old Ci * -Bi
_v_mac_f32 v[vgprValuC+13], v55, s[sgprBeta]       // finalSum Ci += old Ci * Br
_v_mac_f32 v[vgprValuC+13], v54, s[sgprBeta+1]     // finalSum Ci += old Cr * Bi
	;; [unrolled: 5-line block ×3, first 2 shown]
_buffer_store_b64 v[14:15], v53, s[sgprSrdD:sgprSrdD+3], 0, offen, offset:0 // store D
/* optSingleColVgpr=0 optSharedColVgpr=0 optSGPRUsage=BufferLoad_Edge_Mask optSrdIncForRow=0 */

/******************************************/
/* Global Write Alpha Beta Edge Batch #2 (d1,d0,vc1,vc0) = */
/*    (8,0,0,0:vw1); (9,0,0,0:vw1)        */
/******************************************/

/* calc coords, apply mask, and issue loads (if necessary) */
/* (d1,vc1,d0,vc0)=(8,0,0,0) */
_v_add_co_u32 v41, vcc, v41, 8                     // coord1.1: coord1Vgpr += d1*sg1*VW + vc1

/* Fix for UseInitialStridesCD, emitAddressSetupCode */
s_mul_i32 s54, s[sgprStrideC1J], 8                 // scale stride
_v_add_u32 v42, v42, s54                           // ROWINC- Move cinRowPtr to next row
s_mul_i32 s54, s[sgprStrideD1J], 8                 // scale stride
_v_add_u32 v43, v43, s54                           // Move coutRowPtr to next row
v_cmp_lt_u32 s[54:55], v40, s[sgprSizeI]           // coord0 < size0
v_cmp_lt_u32 s[58:59], v41, s[sgprSizeJ]           // coord1 < size1
s_and_b64 s[58:59], s[54:55], s[58:59]             // in0 && in1
_v_add_lshl_u32 v46, v42, v40, 0x3                 // scaleToBpe: accumulate d0 lower and *= bpe into Cin addr
v_cndmask_b32 v46, -1, v46, s[58:59]               // LDC clip if OOB. offset
_buffer_load_b64 v[48:49], v46, s[sgprSrdC:sgprSrdC+3], 0, offen offset:0 // load C for beta calc
_v_add_lshl_u32 v46, v43, v40, 0x3                 // scaleToBpe: accumulate d0 lower and *= bpe into Cin addr
v_cndmask_b32 v46, -1, v46, s[58:59]               // LDD clip if OOB. offset
/* (d1,vc1,d0,vc0)=(9,0,0,0) */
_v_add_co_u32 v41, vcc, v41, 8                     // coord1.1: coord1Vgpr += d1*sg1*VW + vc1

/* Fix for UseInitialStridesCD, emitAddressSetupCode */
s_mul_i32 s54, s[sgprStrideC1J], 8                 // scale stride
_v_add_u32 v42, v42, s54                           // ROWINC- Move cinRowPtr to next row
s_mul_i32 s54, s[sgprStrideD1J], 8                 // scale stride
_v_add_u32 v43, v43, s54                           // Move coutRowPtr to next row
v_cmp_lt_u32 s[54:55], v40, s[sgprSizeI]           // coord0 < size0
v_cmp_lt_u32 s[58:59], v41, s[sgprSizeJ]           // coord1 < size1
s_and_b64 s[58:59], s[54:55], s[58:59]             // in0 && in1
_v_add_lshl_u32 v47, v42, v40, 0x3                 // scaleToBpe: accumulate d0 lower and *= bpe into Cin addr
v_cndmask_b32 v47, -1, v47, s[58:59]               // LDC clip if OOB. offset
_buffer_load_b64 v[50:51], v47, s[sgprSrdC:sgprSrdC+3], 0, offen offset:0 // load C for beta calc
_v_add_lshl_u32 v47, v43, v40, 0x3                 // scaleToBpe: accumulate d0 lower and *= bpe into Cin addr
v_cndmask_b32 v47, -1, v47, s[58:59]               // LDD clip if OOB. offset

/* rC *= alpha batchElements=[(8, 0, 0, 0), (9, 0, 0, 0)] */
v_mov_b32 v52, v[vgprValuC+16]                     // store Cr
v_mul_f32 v[vgprValuC+16], s[sgprAlpha], v[vgprValuC+16] // *= alpha ( Cr = Ar * Cr)
_v_mac_f32 v[vgprValuC+16], -s[sgprAlpha+1], v[vgprValuC+17] // *= alpha ( Cr += -Ai * Ci )
v_mul_f32 v[vgprValuC+17], s[sgprAlpha], v[vgprValuC+17] // *= alpha ( Ci = Ar * Ci)
_v_mac_f32 v[vgprValuC+17], s[sgprAlpha+1], v52    // *= alpha ( Ci += Ai * Cr_backup )
v_mov_b32 v52, v[vgprValuC+18]                     // store Cr
v_mul_f32 v[vgprValuC+18], s[sgprAlpha], v[vgprValuC+18] // *= alpha ( Cr = Ar * Cr)
_v_mac_f32 v[vgprValuC+18], -s[sgprAlpha+1], v[vgprValuC+19] // *= alpha ( Cr += -Ai * Ci )
v_mul_f32 v[vgprValuC+19], s[sgprAlpha], v[vgprValuC+19] // *= alpha ( Ci = Ar * Ci)
_v_mac_f32 v[vgprValuC+19], s[sgprAlpha+1], v52    // *= alpha ( Ci += Ai * Cr_backup )
s_waitcnt vmcnt(0)                                 // wait C

/* apply mask, calc new C and issue writes */
_v_mac_f32 v[vgprValuC+16], v48, s[sgprBeta]       // finalSum Cr += old Cr * Br
_v_mac_f32 v[vgprValuC+16], v49, -s[sgprBeta+1]    // finalSum Cr += old Ci * -Bi
_v_mac_f32 v[vgprValuC+17], v49, s[sgprBeta]       // finalSum Ci += old Ci * Br
_v_mac_f32 v[vgprValuC+17], v48, s[sgprBeta+1]     // finalSum Ci += old Cr * Bi
_buffer_store_b64 v[16:17], v46, s[sgprSrdD:sgprSrdD+3], 0, offen, offset:0 // store D
_v_mac_f32 v[vgprValuC+18], v50, s[sgprBeta]       // finalSum Cr += old Cr * Br
_v_mac_f32 v[vgprValuC+18], v51, -s[sgprBeta+1]    // finalSum Cr += old Ci * -Bi
_v_mac_f32 v[vgprValuC+19], v51, s[sgprBeta]       // finalSum Ci += old Ci * Br
_v_mac_f32 v[vgprValuC+19], v50, s[sgprBeta+1]     // finalSum Ci += old Cr * Bi
_buffer_store_b64 v[18:19], v47, s[sgprSrdD:sgprSrdD+3], 0, offen, offset:0 // store D
s_branch label_GW_End_33                           // jump to end
label_GW_End_33:

label_0038:  /// KernelEnd
s_endpgm                                           // Kernel End

